;; amdgpu-corpus repo=ROCm/rocm-libraries kind=harvested arch=n/a opt=n/a
/*******************************************************************************
 *
 * MIT License
 *
 * Copyright (c) 2020-2021 Advanced Micro Devices, Inc.
 *
 * Permission is hereby granted, free of charge, to any person obtaining a copy
 * of this software and associated documentation files (the "Software"), to deal
 * in the Software without restriction, including without limitation the rights
 * to use, copy, modify, merge, publish, distribute, sublicense, and/or sell
 * copies of the Software, and to permit persons to whom the Software is
 * furnished to do so, subject to the following conditions:
 *
 * The above copyright notice and this permission notice shall be included in all
 * copies or substantial portions of the Software.
 *
 * THE SOFTWARE IS PROVIDED "AS IS", WITHOUT WARRANTY OF ANY KIND, EXPRESS OR
 * IMPLIED, INCLUDING BUT NOT LIMITED TO THE WARRANTIES OF MERCHANTABILITY,
 * FITNESS FOR A PARTICULAR PURPOSE AND NONINFRINGEMENT. IN NO EVENT SHALL THE
 * AUTHORS OR COPYRIGHT HOLDERS BE LIABLE FOR ANY CLAIM, DAMAGES OR OTHER
 * LIABILITY, WHETHER IN AN ACTION OF CONTRACT, TORT OR OTHERWISE, ARISING FROM,
 * OUT OF OR IN CONNECTION WITH THE SOFTWARE OR THE USE OR OTHER DEALINGS IN THE
 * SOFTWARE.
 *
 *******************************************************************************/
; generated by igemm_codegen.py (7c7019d4ff9d424c77959525d6f05af84cc83baf)
;
.include "igemm_bwd_gtcx35_nhwc_fp16_utils.inc"

;----------------------------------------------------------
; starting of kernel igemm_bwd_gtcx35_nhwc_fp16_bx0_ex1_bt64x64x8_wt16x16x4_ws1x1_wr2x2_ta1x1x2x1_1x8x1x32_tb1x1x2x1_1x8x1x32_mh_me_vs1_gkgs
; tensor_layout              : 'nhwc'
; gemm_m_per_block           : 64
; gemm_n_per_block           : 64
; gemm_k_per_block           : 8
; wave_tile_m                : 16
; wave_step_m                : 1
; wave_repeat_m              : 2
; wave_tile_n                : 16
; wave_step_n                : 1
; wave_repeat_n              : 2
; wave_tile_k                : 4
; tensor_a_thread_lengths    : [1, 1, 2, 1]
; tensor_a_cluster_lengths   : [1, 8, 1, 32]
; tensor_b_thread_lengths    : [1, 1, 2, 1]
; tensor_b_cluster_lengths   : [1, 8, 1, 32]
; direction                  : 'bwd'
; precision                  : 'fp16'
; nxb                        : 0
; nxe                        : 1
; gemm_k_global_split        : 1
; merge_e                    : 1
; vector_c                   : 1
; vector_store               : 1
; 
; block_size                 : 256
; lds_total                  : 8192
; lds_buffer_num             : 1
; 
.set k_p_in, 0
.set k_p_wei, 8
.set k_p_out, 16
.set k_hi, 24
.set k_wi, 28
.set k_n, 32
.set k_k, 36
.set k_c, 40
.set k_ho, 44
.set k_wo, 48
.set k_stride_h, 52
.set k_stride_w, 56
.set k_dilation_h, 60
.set k_dilation_w, 64
.set k_pad_h, 68
.set k_pad_w, 72
.set k_y, 76
.set k_x, 80
.set k_dtile_iy, 84
.set k_dtile_ix, 88
.set k_dtile_dy, 92
.set k_dtile_dx, 96
.set k_dtile_y, 100
.set k_dtile_x, 104
.set k_dtile_h, 108
.set k_dtile_w, 112
.set k_dslice_y, 116
.set k_dslice_x, 120
.set k_dslice_h, 124
.set k_dslice_w, 128
.set k_dslice_h_left, 132
.set k_dslice_w_left, 136
.set k_group, 140
.set k_magic_0, 144
.set k_magic_1, 148
.set k_magic_2, 152
.set k_magic_3, 156
.set k_shift_pack_0, 160
.set k_gemm_k_global_split, 164
.set k_end, 168
.set k_gload_out_k_stride, 2
.set k_gload_wei_c_stride, 64

.set s_ka, 0
.set s_bx, 2
.set s_by, 3
.set s_p_in, 4
.set s_p_wei, 8
.set s_p_out, 12
.set s_hi, 16
.set s_wi, 17
.set s_n, 18
.set s_k, 19
.set s_c, 20
.set s_ho, 21
.set s_wo, 22
.set s_stride_h, 23
.set s_stride_w, 24
.set s_dilation_h, 25
.set s_dilation_w, 26
.set s_pad_h, 27
.set s_pad_w, 28
.set s_y, 29
.set s_x, 30
.set s_dtile_iy, 31
.set s_dtile_ix, 32
.set s_dtile_dy, 33
.set s_dtile_dx, 34
.set s_dtile_y, 35
.set s_dtile_x, 36
.set s_dtile_h, 37
.set s_dtile_w, 38
.set s_dslice_y, 39
.set s_dslice_x, 40
.set s_dslice_h, 41
.set s_dslice_w, 42
.set s_dslice_h_left, 43
.set s_dslice_w_left, 44
.set s_group, 45
.set s_magic_0, 6
.set s_magic_1, 7
.set s_magic_2, 46
.set s_magic_3, 47
.set s_shift_m2, 37
.set s_shift_m3, 38
.set s_out_stride_wo, 48
.set s_out_stride_n, 49
.set s_wei_stride_k, 50
.set s_in_stride_wi, 51
.set s_in_stride_n, 52
.set s_block_gtc_ig, 53
.set s_block_gtc_ic, 54
.set s_block_gtc_inb, 55
.set s_k_padded, 56
.set s_knum, 3
.set s_dim_br, 57
.set s_dim_mp, 58
.set s_dim_mr, 59
.set s_dim_np, 60
.set s_k_dsy_dsx, 3
.set s_move_slice_k_dsx, 61
.set s_move_slice_k_dsy, 62
.set s_move_slice_k_k, 63
.set s_diff_out_os_acc_k_dsy_dsx, 64
.set s_diff_out_os_ovf_dsx_acc_dsy, 65
.set s_diff_out_os_ovf_dsy_acc_k, 66
.set s_diff_wei_os_acc_k_dsy_dsx, 67
.set s_diff_wei_os_ovf_dsx_acc_dsy, 68
.set s_diff_wei_os_ovf_dsy_acc_k, 69
.set s_diff_out_iwo_acc_dsx, 70
.set s_diff_out_iwo_ovf_dsx, 71
.set s_diff_out_iho_acc_dsy, 58
.set s_diff_out_iho_ovf_dsy, 60
.set s_move_slice_k_dsx_dsy, 61
.set s_diff_ix_iy_acc_ix, 62
.set s_dslice_x_hi16, 40
.set s_shift_pack_0, 71
.set s_kitr, 1
.set s_out_offset, 72
.set s_in_hi_sshift, 73
.set s_in_wi_sshift, 74
.set s_block_gtc_ik, 75
.set s_gemmk_split, 76
.set s_sub_k, 77
.set s_tmp, 78
.set s_end, 84

.set v_c, 0  ; coalescing:8, needed:0, resuable:22
.set v_a, 0
.set v_b, 8
.set v_gld_a, 16
.set v_gld_b, 18
.set v_sst_a_os, 20
.set v_sld_a_os, 21
.set v_sst_b_os, 22
.set v_sld_b_os, 23
.set v_out_os, 24
.set v_out_iho_list, 26
.set v_out_iwo_list, 28
.set v_out_flag, 30
.set v_out_flag_n, 32
.set v_out_ik, 33
.set v_wei_ike_itr, 34
.set v_out_ike_itr, 35
.set v_out_dslice_iy_itr, 20
.set v_out_dslice_ix_itr, 21
.set v_wei_dslice_iy_itr, 22
.set v_wei_dslice_ix_itr, 23
.set v_out_dslice_ix_iy_itr, 36
.set v_wei_dslice_ix_iy_itr, 37
.set v_out_inb, 38
.set v_out_in, 39
.set v_wei_os, 40
.set v_wei_ic, 41
.set v_wei_ik, 42
.set v_in_os, 8
.set v_in_in, 9
.set v_in_ihi, 10
.set v_in_iwi, 11
.set v_in_flag, 12
.set v_in_flag_c, 41
.set v_in_inb, 38
.set v_co_sst, 39
.set v_co_sld, 43
.set v_gemm_in, 44
.set v_gemm_im, 45
.set v_co_sub_m_index, 45
.set v_co_sub_n_index, 44
.set v_tmp, 46
.set v_wei_tmp_pack, 15
.set v_wei_flag, 52
.set v_out_os_diff, 33
.set v_out_iho_diff, 42
.set v_out_iwo_diff, 50
.set v_wei_os_diff, 51
.set v_in_hi_sshift, 50
.set v_in_wi_sshift, 51
.set v_end, 72

.set a_c, 56
.set a_end, 72

.text
.globl igemm_bwd_gtcx35_nhwc_fp16_bx0_ex1_bt64x64x8_wt16x16x4_ws1x1_wr2x2_ta1x1x2x1_1x8x1x32_tb1x1x2x1_1x8x1x32_mh_me_vs1_gkgs
.p2align 8
.type igemm_bwd_gtcx35_nhwc_fp16_bx0_ex1_bt64x64x8_wt16x16x4_ws1x1_wr2x2_ta1x1x2x1_1x8x1x32_tb1x1x2x1_1x8x1x32_mh_me_vs1_gkgs,@function
igemm_bwd_gtcx35_nhwc_fp16_bx0_ex1_bt64x64x8_wt16x16x4_ws1x1_wr2x2_ta1x1x2x1_1x8x1x32_tb1x1x2x1_1x8x1x32_mh_me_vs1_gkgs:
    s_load_dwordx2  s[s_p_in+0:s_p_in+1],       s[s_ka+0:s_ka+1],    0+k_p_in
    s_load_dwordx2  s[s_p_wei+0:s_p_wei+1],      s[s_ka+0:s_ka+1],    0+k_p_wei
    s_load_dwordx2  s[s_p_out+0:s_p_out+1],      s[s_ka+0:s_ka+1],    0+k_p_out
    s_load_dwordx16 s[s_hi+0:s_hi+15],        s[s_ka+0:s_ka+1],    0+k_hi
    s_load_dwordx8  s[s_dtile_ix+0:s_dtile_ix+7],   s[s_ka+0:s_ka+1],    0+k_dtile_ix
    s_load_dwordx4  s[s_dslice_x+0:s_dslice_x+3],   s[s_ka+0:s_ka+1],    0+k_dslice_x
    s_load_dwordx2  s[s_dslice_w_left+0:s_dslice_w_left+1],   s[s_ka+0:s_ka+1],    0+k_dslice_w_left
    s_load_dwordx2 s[s_magic_0+0:s_magic_0+1],  s[s_ka+0:s_ka+1],  0+k_magic_0
    s_load_dwordx2 s[s_magic_2+0:s_magic_2+1],  s[s_ka+0:s_ka+1],  0+k_magic_2
    s_load_dword s[s_shift_pack_0], s[s_ka+0:s_ka+1],  0+k_shift_pack_0
    s_load_dword s[s_gemmk_split], s[s_ka+0:s_ka+1],  0+k_gemm_k_global_split
    ; out(e, k, nb0, nb1) thread_lengths: 1x1x2x1, cluster_length: 1x8x1x32, k_pack:1
    ; wei(e, k, c0, c1) thread_length: 1x1x2x1, cluster_length: 1x8x1x32, k_pack:1
    v_mov_b32 v[v_tmp], v0
    v_and_b32 v[v_out_ike_itr], 7, v[v_tmp]
    v_lshrrev_b32 v[v_tmp], 3, v[v_tmp]
    v_and_b32 v[v_out_inb], 31, v[v_tmp]
    v_mov_b32 v[v_tmp], v0
    v_and_b32 v[v_wei_ic], 31, v[v_tmp]
    v_lshrrev_b32 v[v_tmp], 5, v[v_tmp]
    v_and_b32 v[v_wei_ike_itr], 7, v[v_tmp]

    s_waitcnt lgkmcnt(0)

    ; calculate index
    s_lshl_b32 s[s_tmp+1], 1, s[s_gemmk_split]
    s_sub_u32 s[s_tmp], s[s_tmp+1], 1
    s_add_u32 s[s_tmp+1], s[s_tmp], s[s_k]
    s_lshr_b32 s[s_sub_k], s[s_tmp+1], s[s_gemmk_split] ; add gkgs for k
    s_mul_i32 s[s_out_stride_wo], s[s_k], s[s_group]
    s_mul_i32 s[s_tmp+2], s[s_wo], s[s_out_stride_wo]
    s_mul_i32 s[s_out_stride_n], s[s_ho], s[s_tmp+2]
    s_mul_i32 s[s_tmp], s[s_x], s[s_c]
    s_mul_i32 s[s_wei_stride_k], s[s_tmp], s[s_y]
    s_mul_i32 s[s_in_stride_wi], s[s_c], s[s_group]
    s_mul_i32 s[s_tmp+1], s[s_wi], s[s_in_stride_wi]
    s_mul_i32 s[s_in_stride_n], s[s_hi], s[s_tmp+1]
    s_mul_i32  s[s_tmp], s[s_n], s[s_in_stride_n]
    s_mul_i32  s[s_tmp+1], s[s_n], s[s_out_stride_n]
    s_lshl_b32 s[s_tmp+4], s[s_tmp], 1
    s_lshl_b32 s[s_tmp+5], s[s_tmp+1], 1
    s_mul_i32 s[s_tmp], s[s_by], s[s_tmp+4]
    s_mul_hi_u32 s[s_tmp+1], s[s_by], s[s_tmp+4]
    s_add_u32 s[s_p_in], s[s_p_in], s[s_tmp]
    s_addc_u32 s[s_p_in+1], s[s_p_in+1], s[s_tmp+1]
    s_mul_i32 s[s_tmp], s[s_by], s[s_tmp+5]
    s_mul_hi_u32 s[s_tmp+1], s[s_by], s[s_tmp+5]
    s_add_u32 s[s_p_out], s[s_p_out], s[s_tmp]
    s_addc_u32 s[s_p_out+1], s[s_p_out+1], s[s_tmp+1]
    s_mul_i32 s[s_dim_br], s[s_dslice_h], s[s_dslice_w]
    s_mul_i32 s[s_dim_mr], s[s_n], s[s_dim_br]
    s_add_u32 s[s_tmp], 63, s[s_dim_mr]
    s_lshr_b32 s[s_tmp+1], s[s_tmp], 6
    s_lshl_b32 s[s_dim_mp], s[s_tmp+1], 6
    s_add_u32 s[s_tmp], 63, s[s_c]
    s_lshr_b32 s[s_tmp+1], s[s_tmp], 6
    s_lshl_b32 s[s_dim_np], s[s_tmp+1], 6

    ; gemm_m_per_block:64, gemm_n_per_block:64, source_access_order:0
    s_lshl_b32 s[s_tmp+3], 1, s[s_gemmk_split]
    s_sub_u32 s[s_tmp+3], s[s_tmp+3], 1
    s_and_b32 s[s_block_gtc_ik], s[s_bx], s[s_tmp+3]
    s_lshr_b32 s[s_bx], s[s_bx], s[s_gemmk_split]
    s_mul_i32 s[s_block_gtc_ik], s[s_block_gtc_ik], s[s_sub_k]
    s_cmp_lt_u32 s[s_block_gtc_ik], s[s_k]
    s_cbranch_scc0 L_igemm_bwd_gtcx35_nhwc_fp16_bx0_ex1_bt64x64x8_wt16x16x4_ws1x1_wr2x2_ta1x1x2x1_1x8x1x32_tb1x1x2x1_1x8x1x32_mh_me_vs1_gkgs_out
    s_lshr_b32 s[s_tmp], s[s_dim_mp], 6
    s_lshr_b32 s[s_tmp+1], s[s_dim_np], 6
    s_mul_i32 s[0], s[s_tmp+1], s[s_tmp]
    ; multihead dispatch code start
    s_mul_i32 s[s_tmp], s[s_dtile_y], s[s_dtile_x]
    s_cmp_eq_u32  1,  s[s_tmp]
    s_cbranch_scc1 L_igemm_bwd_gtcx35_nhwc_fp16_bx0_ex1_bt64x64x8_wt16x16x4_ws1x1_wr2x2_ta1x1x2x1_1x8x1x32_tb1x1x2x1_1x8x1x32_mh_me_vs1_gkgs_mh_dispatch_end
    s_mul_i32 s[s_tmp+2], s[0], s[s_group]
    .mdiv_u32_rem_ss s_tmp+4,s_tmp+5,s_bx,s_dtile_h,s_dtile_w,s_tmp+2,s_tmp
    s_mov_b32 s[s_bx], s[s_tmp+4]
    .mdiv_u32_rem_ss s_tmp+3,s_tmp+4,s_tmp+5,s_dtile_iy,s_dtile_ix,s_dtile_x,s_tmp
    s_add_u32 s[s_tmp+5], s[s_y], s[s_dtile_y]
    s_sub_u32 s[s_tmp+5], s[s_tmp+5], s[s_tmp+4]
    s_sub_u32 s[s_tmp+5], s[s_tmp+5], 1
    .mdiv_u32_ss s_dslice_y,s_tmp+5,s_dslice_y,s_dslice_x,s_tmp
    s_add_u32 s[s_tmp+5], s[s_x], s[s_dtile_x]
    s_sub_u32 s[s_tmp+5], s[s_tmp+5], s[s_tmp+3]
    s_sub_u32 s[s_tmp+5], s[s_tmp+5], 1
    .mdiv_u32_ss s_dslice_x,s_tmp+5,s_dtile_iy,s_dtile_ix,s_tmp
    s_mov_b32 s[s_dtile_iy],  s[s_tmp+4]
    s_mov_b32 s[s_dtile_ix],  s[s_tmp+3]
    s_cmp_lt_u32 s[s_dtile_iy], s[s_y]
    s_cbranch_scc0 L_igemm_bwd_gtcx35_nhwc_fp16_bx0_ex1_bt64x64x8_wt16x16x4_ws1x1_wr2x2_ta1x1x2x1_1x8x1x32_tb1x1x2x1_1x8x1x32_mh_me_vs1_gkgs_out
    s_cmp_lt_u32 s[s_dtile_ix], s[s_x]
    s_cbranch_scc0 L_igemm_bwd_gtcx35_nhwc_fp16_bx0_ex1_bt64x64x8_wt16x16x4_ws1x1_wr2x2_ta1x1x2x1_1x8x1x32_tb1x1x2x1_1x8x1x32_mh_me_vs1_gkgs_out
    ; multihead dispatch code end
L_igemm_bwd_gtcx35_nhwc_fp16_bx0_ex1_bt64x64x8_wt16x16x4_ws1x1_wr2x2_ta1x1x2x1_1x8x1x32_tb1x1x2x1_1x8x1x32_mh_me_vs1_gkgs_mh_dispatch_end:

    s_sub_u32 s[s_tmp+2], s[s_k], s[s_block_gtc_ik]
    s_cmp_lt_u32 s[s_tmp+2], s[s_sub_k]
    s_cselect_b32 s[s_tmp+1], s[s_tmp+2], s[s_sub_k]
    s_mul_i32 s[s_tmp], s[s_dslice_x], s[s_dslice_y]
    s_mul_i32 s[s_knum], s[s_tmp], s[s_tmp+1]
    s_bfe_u32 s[s_tmp+3], s[s_shift_pack_0], 0x00080008 ; offset:8, width:8
    .mdiv_u32_rem_ss s_tmp+4,s_block_gtc_ig,s_bx,s_magic_1,s_tmp+3,0,s_tmp
    s_mov_b32 s[s_bx], s[s_tmp+4]
    s_lshr_b32 s[0], s[s_dim_np], 6
    s_bfe_u32 s[s_tmp+3], s[s_shift_pack_0], 0x00080000 ; offset:0, width:8
    .mdiv_u32_rem_ss s_tmp+4,s_tmp+5,s_bx,s_magic_0,s_tmp+3,0,s_tmp
    ; s_tmp+4:block_gtc_in, s_tmp+5:block_gtc_im
    s_lshl_b32 s[s_block_gtc_ic], s[s_tmp+4], 6
    s_lshl_b32 s[s_block_gtc_inb], s[s_tmp+5], 6
    v_add_u32 v[v_tmp+5], s[s_block_gtc_inb], v[v_out_inb]
    s_bfe_u32 s[s_shift_m3], s[s_shift_pack_0], 0x00080018 ; offset:24, width:8
    .mdiv_u32_rem_vs v_tmp+4,v_out_in,v_tmp+5,s_magic_3,s_shift_m3,s_dim_br,v_tmp
    s_bfe_u32 s[s_shift_m2], s[s_shift_pack_0], 0x00080010 ; offset:16, width:8
    .mdiv_u32_rem_vs v_out_iwo_list,v_out_iho_list,v_tmp+4,s_magic_2,s_shift_m2,s_dslice_w,v_tmp
    v_add_u32 v[v_out_iho_list], s[s_dslice_h_left], v[v_out_iho_list]
    v_add_u32 v[v_out_iwo_list], s[s_dslice_w_left], v[v_out_iwo_list]

    s_lshl_b32 s[s_block_gtc_ig], s[s_block_gtc_ig], 1
    .v_u32_div_rem_vs v_wei_dslice_ix_itr, v_tmp+4, v_wei_ike_itr, s_dslice_x, v_tmp, s_tmp
    .v_u32_div_rem_vs v_wei_dslice_iy_itr, v_wei_ik, v_tmp+4, s_dslice_y, v_tmp, s_tmp
    ; calculate wei offset
    s_mul_i32 s[s_tmp+2], s[s_k], s[s_wei_stride_k]
    s_mul_i32 s[s_tmp], s[s_block_gtc_ig], s[s_tmp+2]
    s_mul_hi_u32 s[s_tmp+1], s[s_block_gtc_ig], s[s_tmp+2]
    s_add_u32 s[s_p_wei], s[s_p_wei], s[s_tmp]
    s_addc_u32 s[s_p_wei+1], s[s_p_wei+1], s[s_tmp+1]
    v_add_u32 v[v_tmp+5], s[s_block_gtc_ic], v[v_wei_ic]
    s_mul_i32 s[s_tmp], s[s_dtile_iy], s[s_x] 
    v_add_u32 v[v_tmp], v[v_wei_ik], s[s_block_gtc_ik]
    v_mul_lo_u32 v[v_tmp+4], s[s_wei_stride_k], v[v_tmp]
    s_add_u32 s[s_tmp], s[s_tmp], s[s_dtile_ix]
    v_add_lshl_u32 v[v_wei_os], v[v_tmp+4], v[v_tmp+5], 1
    s_lshl_b32 s[s_tmp+1], s[s_c], 1
    v_mul_u32_u24 v[v_tmp], s[s_dtile_x], v[v_wei_dslice_ix_itr]
    v_mul_u32_u24 v[v_tmp+1], s[s_dtile_y], v[v_wei_dslice_iy_itr]
    v_mad_u32_u24 v[v_tmp+1], v[v_tmp+1], s[s_x], v[v_tmp]
    v_mul_u32_u24 v[v_tmp], s[s_tmp+1], v[v_tmp+1]
    v_add_u32 v[v_wei_os], v[v_tmp], v[v_wei_os]
    v_cmp_gt_u32 vcc, s[s_c], v[v_tmp+5]
    s_mul_i32 s[s_tmp], s[s_tmp], s[s_tmp+1]
    v_cndmask_b32 v[v_wei_flag], 0, 1, vcc
    v_cmp_gt_u32 vcc, s[s_k_dsy_dsx], v[v_wei_ike_itr]
    v_cndmask_b32 v[v_tmp], 0, 1, vcc
    v_and_b32 v[v_wei_flag], v[v_wei_flag], v[v_tmp]
    v_mov_b32 v[v_wei_tmp_pack], v[v_wei_flag]
    v_add_u32 v[v_wei_os], s[s_tmp], v[v_wei_os]
    s_mov_b32 s[s_tmp], 32
    v_add_u32 v[v_tmp+5], s[s_tmp], v[v_tmp+5]
    v_cmp_gt_u32 vcc, s[s_c], v[v_tmp+5]
    v_cndmask_b32 v[v_wei_flag+1], 0, 1, vcc
    v_cmp_gt_u32 vcc, s[s_k_dsy_dsx], v[v_wei_ike_itr]
    v_cndmask_b32 v[v_tmp], 0, 1, vcc
    v_and_b32 v[v_wei_flag+1], v[v_wei_flag+1], v[v_tmp]
    v_lshl_or_b32 v[v_wei_tmp_pack], v[v_wei_flag+1], 1, v[v_wei_tmp_pack]


    v_lshl_or_b32 v[v_wei_dslice_ix_iy_itr], v[v_wei_dslice_ix_itr], 16, v[v_wei_dslice_iy_itr]
    .v_clear_nc v_gld_b, 2
    s_mov_b32 s[s_p_wei+2], 0xffffffff
    s_mov_b32 s[s_p_wei+3], 0x27000
    v_cmpx_le_u32 vcc, 1, v[v_wei_flag]
    buffer_load_short_d16 v[v_gld_b], v[v_wei_os], s[s_p_wei:s_p_wei+3], 0 offen offset:0
    s_mov_b64 exec, -1
    v_cmpx_le_u32 vcc, 1, v[v_wei_flag+1]
    buffer_load_short_d16 v[v_gld_b+1], v[v_wei_os], s[s_p_wei:s_p_wei+3], 0 offen offset:1 * k_gload_wei_c_stride
    s_mov_b64 exec, -1

    .v_u32_div_rem_vs v_out_dslice_ix_itr, v_tmp+4, v_out_ike_itr, s_dslice_x, v_tmp, s_tmp
    .v_u32_div_rem_vs v_out_dslice_iy_itr, v_out_ik, v_tmp+4, s_dslice_y, v_tmp, s_tmp
    v_mul_u32_u24 v[v_tmp+1], s[s_dtile_dy], v[v_out_dslice_iy_itr]
    v_mul_u32_u24 v[v_tmp], s[s_dtile_dx], v[v_out_dslice_ix_itr]
    v_subrev_u32 v[v_out_iho_list], v[v_tmp+1], v[v_out_iho_list]
    v_subrev_u32 v[v_out_iwo_list], v[v_tmp], v[v_out_iwo_list]
    v_cmp_gt_u32 vcc, s[s_n], v[v_out_in]
    v_cndmask_b32 v[v_tmp], 0, 1, vcc
    v_cmp_gt_u32 vcc, s[s_k_dsy_dsx], v[v_out_ike_itr]
    v_cndmask_b32 v[v_tmp+1], 0, 1, vcc
    v_and_b32 v[v_tmp], v[v_tmp+1], v[v_tmp]
    v_lshlrev_b32 v[v_out_flag_n], 0, v[v_tmp]
    ; calculate output offset
    s_mov_b32 s[s_out_offset], 0
    s_mul_i32 s[s_tmp], s[s_block_gtc_ig], s[s_k]
    s_mul_hi_u32 s[s_tmp+1], s[s_block_gtc_ig], s[s_k]
    s_add_u32 s[s_p_out], s[s_p_out], s[s_tmp]
    s_addc_u32 s[s_p_out+1], s[s_p_out+1], s[s_tmp+1]

    v_mul_lo_u32 v[v_tmp+1], s[s_out_stride_n], v[v_out_in]
    s_lshl_b32 s[s_out_stride_wo], s[s_out_stride_wo], 1
    v_add_u32 v[v_tmp+1], v[v_tmp+1], s[s_block_gtc_ik]
    v_add_lshl_u32 v[v_tmp+4], v[v_out_ik], v[v_tmp+1], 1
    v_mul_lo_u32 v[v_tmp], s[s_wo], v[v_out_iho_list]
    v_add_u32 v[v_tmp], v[v_out_iwo_list], v[v_tmp]
    v_mul_lo_u32 v[v_tmp], s[s_out_stride_wo], v[v_tmp]
    v_add_u32 v[v_out_os], v[v_tmp+4], v[v_tmp]
    v_bfe_u32 v[v_tmp+1], v[v_out_flag_n],  0, 1
    v_cmp_gt_u32 vcc, s[s_ho], v[v_out_iho_list]
    v_cndmask_b32 v[v_out_flag], 0, v[v_tmp+1], vcc
    v_cmp_gt_u32 vcc, s[s_wo], v[v_out_iwo_list]
    v_cndmask_b32 v[v_out_flag], 0, v[v_out_flag], vcc

    s_mov_b32 s1, 32
    v_add_u32 v[v_tmp], s1, v[v_out_inb]
    v_add_u32 v[v_tmp+5], s[s_block_gtc_inb], v[v_tmp]
    .mdiv_u32_rem_vs v_tmp+4,v_out_in,v_tmp+5,s_magic_3,s_shift_m3,s_dim_br,v_tmp
    .mdiv_u32_rem_vs v_out_iwo_list+1,v_out_iho_list+1,v_tmp+4,s_magic_2,s_shift_m2,s_dslice_w,v_tmp
    v_add_u32 v[v_out_iho_list+1], s[s_dslice_h_left], v[v_out_iho_list+1]
    v_add_u32 v[v_out_iwo_list+1], s[s_dslice_w_left], v[v_out_iwo_list+1]
    v_mul_u32_u24 v[v_tmp+1], s[s_dtile_dy], v[v_out_dslice_iy_itr]
    v_mul_u32_u24 v[v_tmp], s[s_dtile_dx], v[v_out_dslice_ix_itr]
    v_subrev_u32 v[v_out_iho_list+1], v[v_tmp+1], v[v_out_iho_list+1]
    v_subrev_u32 v[v_out_iwo_list+1], v[v_tmp], v[v_out_iwo_list+1]

    v_mul_lo_u32 v[v_tmp+1], s[s_out_stride_n], v[v_out_in]
    v_add_u32 v[v_tmp+1], v[v_tmp+1], s[s_block_gtc_ik]
    v_add_lshl_u32 v[v_tmp+4], v[v_out_ik], v[v_tmp+1], 1
    v_mul_lo_u32 v[v_tmp], s[s_wo], v[v_out_iho_list+1]
    v_add_u32 v[v_tmp], v[v_out_iwo_list+1], v[v_tmp]
    v_mul_lo_u32 v[v_tmp], s[s_out_stride_wo], v[v_tmp]
    v_add_u32 v[v_out_os+1], v[v_tmp+4], v[v_tmp]
    v_cmp_gt_u32 vcc, s[s_n], v[v_out_in]
    v_cndmask_b32 v[v_tmp], 0, 1, vcc
    v_cmp_gt_u32 vcc, s[s_k_dsy_dsx], v[v_out_ike_itr]
    v_cndmask_b32 v[v_tmp+1], 0, 1, vcc
    v_and_b32 v[v_tmp], v[v_tmp+1], v[v_tmp]
    v_lshl_or_b32 v[v_out_flag_n], v[v_tmp], 1, v[v_out_flag_n]
    v_cmp_gt_u32 vcc, s[s_ho], v[v_out_iho_list+1]
    v_cndmask_b32 v[v_out_flag+1], 0, v[v_tmp], vcc
    v_cmp_gt_u32 vcc, s[s_wo], v[v_out_iwo_list+1]
    v_cndmask_b32 v[v_out_flag+1], 0, v[v_out_flag+1], vcc
    v_lshl_or_b32 v[v_out_dslice_ix_iy_itr], v[v_out_dslice_ix_itr], 16, v[v_out_dslice_iy_itr]
    s_mov_b32 s[s_p_out+2], 0xffffffff
    s_mov_b32 s[s_p_out+3], 0x27000
    ; load output, nxe:1
    .v_clear_nc v_gld_a, 2
    v_cmpx_le_u32 vcc, 1, v[v_out_flag]
    buffer_load_short_d16 v[v_gld_a], v[v_out_os], s[s_p_out:s_p_out+3], s[s_out_offset] offen offset:0
    s_mov_b64 exec, -1
    v_cmpx_le_u32 vcc, 1, v[v_out_flag+1]
    buffer_load_short_d16 v[v_gld_a+1], v[v_out_os+1], s[s_p_out:s_p_out+3], s[s_out_offset] offen offset:0
    s_mov_b64 exec, -1

    s_mov_b32 s[0], 8
    .v_u32_div_rem_ss s_move_slice_k_dsx, s_tmp+4, 0, s_dslice_x, v_tmp+5, v_tmp, s_tmp
    .v_u32_div_rem_ss s_move_slice_k_dsy, s_move_slice_k_k, s_tmp+4, s_dslice_y, v_tmp+5, v_tmp, s_tmp
    v_mov_b32 v[v_tmp+5], v0
    ; xdlops mapping, get source matrix gemm index, k_pack:4, v_pack:1, k_pack_per_thread:1
    v_and_b32 v[v_gemm_in], 3, v[v_tmp+5]           ; block_n index 
    v_and_b32 v[v_gemm_im], 3, v[v_tmp+5]           ; block_m index 
    v_lshlrev_b32 v[v_gemm_in], 2, v[v_gemm_in]   ; shift left k_pack:4
    v_lshlrev_b32 v[v_gemm_im], 2, v[v_gemm_im]   ; shift left k_pack:4
    v_lshrrev_b32 v[v_tmp+5], 2, v[v_tmp+5]
    v_and_b32 v[v_tmp + 0], 3, v[v_tmp+5]          ; block_n_per_wave index
    v_lshl_or_b32 v[v_gemm_in], v[v_tmp + 0], 4, v[v_gemm_in]
    v_lshrrev_b32 v[v_tmp+5], 2, v[v_tmp+5]
    v_and_b32 v[v_tmp + 1], 3, v[v_tmp+5]          ; block_m_per_wave index
    v_lshl_or_b32 v[v_gemm_im], v[v_tmp + 1], 4, v[v_gemm_im]
    v_lshrrev_b32 v[v_tmp+5], 2, v[v_tmp+5]
    v_and_b32 v[v_tmp + 2], 1, v[v_tmp+5]  ; waves_per_n index
    v_lshl_or_b32 v[v_gemm_in], v[v_tmp + 2], 6, v[v_gemm_in]
    v_lshrrev_b32 v[v_tmp+5], 1, v[v_tmp+5]
    v_and_b32 v[v_tmp + 3], 1, v[v_tmp+5]  ; waves_per_m index
    v_lshl_or_b32 v[v_gemm_im], v[v_tmp + 3], 6, v[v_gemm_im]

    v_mov_b32 v[v_tmp+5], v0
    ; xdlops mapping, get dst matrix gemm index
    v_and_b32 v[v_tmp+0], 3, v[v_tmp+5]
    v_lshrrev_b32 v[v_tmp+5], 2, v[v_tmp+5]
    v_and_b32 v[v_tmp+2], 3, v[v_tmp+5]
    v_lshrrev_b32 v[v_tmp+5], 2, v[v_tmp+5]
	;; [unrolled: 2-line block ×3, first 2 shown]
    v_mov_b32 v[v_co_sst], v[v_tmp+0]
    v_lshl_or_b32 v[v_co_sst], v[v_tmp+2], 2, v[v_co_sst]
    v_lshlrev_b32 v[v_co_sld], 2, v[v_tmp+3]
    v_and_b32 v[v_tmp+0], 1, v[v_tmp+5]
    v_lshrrev_b32 v[v_tmp+5], 1, v[v_tmp+5]
    v_and_b32 v[v_tmp+1], 1, v[v_tmp+5]
    v_lshl_or_b32 v[v_co_sst], v[v_tmp+0], 4, v[v_co_sst]
    v_lshl_or_b32 v[v_co_sld], v[v_tmp+1], 4, v[v_co_sld]

    ; LDS store, out: e,k,nb0,nb1: 1x1x2x1, 1x8x1x32, k_pack:1, k_pack_gld_a:1, fp16
    v_lshlrev_b32 v[v_tmp+2], 2,  v[v_out_inb]
    v_lshrrev_b32 v[v_tmp+1], 2,  v[v_out_ike_itr]
    v_lshl_or_b32 v[v_tmp], v[v_tmp+1], 8, v[v_tmp+2]
    v_and_b32 v[v_tmp+2], 3, v[v_out_ike_itr]
    v_or_b32 v[v_tmp], v[v_tmp], v[v_tmp+2]
    v_lshlrev_b32 v[v_sst_a_os], 1, v[v_tmp]

    v_lshlrev_b32 v[v_sld_a_os], 1, v[v_gemm_im] ; LDS load out
    ; LDS store, wei: e,k,c: 1x1x2x1, 1x8x1x32, k_pack:1, k_pack_gld_b:1, fp16
    v_lshlrev_b32 v[v_tmp+2], 2,  v[v_wei_ic]
    v_lshrrev_b32 v[v_tmp+1], 2,  v[v_wei_ike_itr]
    v_lshl_or_b32 v[v_tmp], v[v_tmp+1], 8, v[v_tmp+2]
    v_and_b32 v[v_tmp+2], 3, v[v_wei_ike_itr]
    v_or_b32 v[v_tmp], v[v_tmp], v[v_tmp+2]
    v_lshlrev_b32 v[v_sst_b_os], 1, v[v_tmp]
    v_add_u32 v[v_sst_b_os], 1024, v[v_sst_b_os]

    v_lshlrev_b32 v[v_sld_b_os], 1, v[v_gemm_in] ; LDS load wei
    v_add_u32 v[v_sld_b_os], 1024, v[v_sld_b_os]
    v_mov_b32 v[v_gemm_in], v[v_co_sst]
    v_mov_b32 v[v_gemm_im], v[v_co_sld]
    ; init_co_lds_offset for xdlops
    v_lshrrev_b32 v[v_tmp], 2, v[v_gemm_im]
    v_and_b32 v[v_tmp],  0, v[v_tmp]   ; thread id of lanegroup_m_per_cluster
    v_lshlrev_b32 v[v_co_sst], 2, v[v_tmp]
    v_lshrrev_b32 v[v_tmp+1], 2, v[v_gemm_im]
    v_and_b32 v[v_tmp+1], 3  , v[v_tmp+1]   ; thread id of block_m_per_lanegroup
    v_lshl_or_b32 v[v_co_sst], v[v_tmp+1], 2, v[v_co_sst]
    v_lshrrev_b32 v[v_tmp+2], 4, v[v_gemm_im]  ; thread id of waves_per_m
    v_lshl_or_b32 v[v_co_sst], v[v_tmp+2], 4, v[v_co_sst]
    v_lshrrev_b32 v[v_tmp], 2, v[v_co_sst]
    v_lshlrev_b32 v[v_tmp+1], 2, v[v_gemm_in]   ; implicit transpose with m granularity:4 while store
    v_lshl_or_b32 v[v_co_sst], v[v_tmp], 8, v[v_tmp+1]
    v_lshlrev_b32 v[v_co_sst], 2, v[v_co_sst]
    v_lshlrev_b32 v[v_co_sld], 4, v[0]
    ; init_co_sub_m_index xdlops, block_size:256, macro-tile:64x64 sub_m_index:[0, 4, 8, 12]
    ; g_mr:2, g_ms:1, g_mw:1, g_mb:1, g_mt:1 | l_mr:1, l_ms:1, l_mw:1, l_mb:1, l_mt:4 | n_mc:1, n_ml:4, n_mv:2
    ; nd_stride:[4, 1, 4, 1, 1, 1, 2, 1]
    v_lshrrev_b32 v[v_co_sub_m_index], 6, v[0]   ; get tid along m
    v_and_b32 v[v_tmp+0], 3, v[v_co_sub_m_index]                   ; => x_ml
    v_lshlrev_b32 v[v_co_sub_m_index], 2, v[v_tmp+0]      ; => accumulate x_ml
    ; init_co_sub_n_index xdlops
    v_and_b32 v[v_co_sub_n_index], 63, v[0]

    v_add_u32 v[v_tmp], s[s_block_gtc_ic], v[v_co_sub_n_index]
    v_cmp_gt_u32 vcc, s[s_c], v[v_tmp]
    v_cndmask_b32 v[v_in_flag_c], 0, 1, vcc
    ; input offset
    s_mul_i32 s[s_block_gtc_ig], s[s_block_gtc_ig], 2
    s_mul_i32 s[s_tmp], s[s_block_gtc_ig], s[s_c]
    s_mul_hi_u32 s[s_tmp+1], s[s_block_gtc_ig], s[s_c]
    s_add_u32 s[s_p_in], s[s_p_in], s[s_tmp]
    s_addc_u32 s[s_p_in+1], s[s_p_in+1], s[s_tmp+1]

    s_lshl_b32 s[s_tmp+3], s[s_block_gtc_ic], 2
    s_add_u32 s[s_p_in], s[s_p_in], s[s_tmp+3]
    s_addc_u32 s[s_p_in+1], s[s_p_in+1], 0

    s_lshl_b32 s[s_in_stride_wi], s[s_in_stride_wi], 2
    v_add_u32 v[v_in_inb], s[s_block_gtc_inb], v[v_co_sub_m_index]
    s_mul_i32 s[s_tmp], s[s_dslice_h_left], s[s_stride_h]
    s_mul_i32 s[s_tmp+1], s[s_dtile_iy], s[s_dilation_h]
    s_add_i32 s[s_tmp+2], s[s_tmp], s[s_tmp+1]
    s_sub_i32 s[s_in_hi_sshift], s[s_tmp+2], s[s_pad_h]
    s_mul_i32 s[s_tmp], s[s_dslice_w_left], s[s_stride_w]
    s_mul_i32 s[s_tmp+1], s[s_dtile_ix], s[s_dilation_w]
    s_add_i32 s[s_tmp+2], s[s_tmp], s[s_tmp+1]
    s_sub_i32 s[s_in_wi_sshift], s[s_tmp+2], s[s_pad_w]
    v_lshlrev_b32 v[v_co_sub_n_index], 2, v[v_co_sub_n_index]
    s_lshl_b32 s[s_in_stride_n], s[s_in_stride_n], 2
    ; move slice stride
    v_bfe_u32 v[v_wei_flag], v[v_wei_tmp_pack], 0, 1
    v_bfe_u32 v[v_wei_flag+1], v[v_wei_tmp_pack], 1, 1

    s_mov_b32 s[s_p_in+2], 0xffffffff
    s_mov_b32 s[s_p_in+3], 0x27000
    s_lshl_b32 s[s_wei_stride_k], s[s_wei_stride_k], 1
    s_lshl_b32 s[s_tmp+4], s[s_c], 1
    s_mul_i32 s[s_tmp+5], s[s_x], s[s_tmp+4]
    s_mul_i32 s[s_tmp+3], s[s_wo], s[s_out_stride_wo]
    s_mul_i32 s[s_diff_out_iho_ovf_dsy], s[s_dslice_y], s[s_dtile_dy]
    s_mul_i32 s[s_diff_out_iho_acc_dsy], s[s_move_slice_k_dsy], s[s_dtile_dy]
    s_mul_i32 s[s_diff_out_iho_acc_dsy], -1, s[s_diff_out_iho_acc_dsy]
    s_mul_i32 s[s_diff_out_iwo_ovf_dsx], s[s_dslice_x], s[s_dtile_dx]
    s_mul_i32 s[s_diff_out_iwo_acc_dsx], s[s_move_slice_k_dsx], s[s_dtile_dx]
    s_mul_i32 s[s_diff_out_iwo_acc_dsx], -1, s[s_diff_out_iwo_acc_dsx]
    s_mul_i32 s[s_tmp], s[s_dtile_y], s[s_tmp+5]
    s_mul_i32 s[s_tmp+2], s[s_dtile_x], s[s_tmp+4]
    s_mul_i32 s[s_tmp+1], s[s_tmp], s[s_dslice_y]
    s_sub_u32 s[s_diff_wei_os_ovf_dsy_acc_k], s[s_wei_stride_k], s[s_tmp+1]
    s_mul_i32 s[s_tmp+1], s[s_dslice_x], s[s_tmp+2]
    s_sub_u32 s[s_diff_wei_os_ovf_dsx_acc_dsy], s[s_tmp], s[s_tmp+1]
    s_mul_i32 s[s_tmp], s[s_move_slice_k_dsy], s[s_tmp]
    s_mul_i32 s[s_tmp+1], s[s_move_slice_k_dsx], s[s_tmp+2]
    s_mul_i32 s[s_tmp+2], s[s_move_slice_k_k], s[s_wei_stride_k]
    s_add_u32 s[s_tmp], s[s_tmp], s[s_tmp+1]
    s_add_u32 s[s_diff_wei_os_acc_k_dsy_dsx], s[s_tmp], s[s_tmp+2]
    s_mul_i32 s[s_tmp], s[s_diff_out_iho_ovf_dsy], s[s_tmp+3]
    s_add_u32 s[s_diff_out_os_ovf_dsy_acc_k], s[s_tmp], 2
    s_mul_i32 s[s_tmp], s[s_dtile_dy], s[s_tmp+3]
    s_mul_i32 s[s_tmp+1], s[s_diff_out_iwo_ovf_dsx], s[s_out_stride_wo]
    s_sub_u32 s[s_diff_out_os_ovf_dsx_acc_dsy], s[s_tmp+1], s[s_tmp]
    s_mul_i32 s[s_tmp], s[s_diff_out_iho_acc_dsy], s[s_tmp+3]
    s_mul_i32 s[s_tmp+1], s[s_diff_out_iwo_acc_dsx], s[s_out_stride_wo]
    s_lshl_b32 s[s_tmp+2], s[s_move_slice_k_k], 1
    s_add_u32 s[s_tmp], s[s_tmp], s[s_tmp+1]
    s_add_u32 s[s_diff_out_os_acc_k_dsy_dsx], s[s_tmp], s[s_tmp+2]
    s_lshl_b32 s[s_tmp], s[s_move_slice_k_dsx], 16
    s_or_b32 s[s_move_slice_k_dsx_dsy], s[s_tmp], s[s_move_slice_k_dsy]
    s_lshl_b32 s[s_dslice_x_hi16], s[s_dslice_x], 16
    s_sub_u32 s[s_diff_ix_iy_acc_ix], 1, s[s_dslice_x_hi16]
    ; start MFMA loop, 16x16 wave tile with 2x2 repeat, 1x1 step, k_pack:4
    s_waitcnt vmcnt(2)
    ds_write_b16 v[v_sst_b_os], v[v_gld_b] 
    ds_write_b16 v[v_sst_b_os], v[v_gld_b+1] offset:256

    s_waitcnt vmcnt(0)
    ds_write_b16 v[v_sst_a_os], v[v_gld_a+0] 
    ds_write_b16 v[v_sst_a_os], v[v_gld_a+1] offset:256

    .v_clear_nc a_c, 16
    ; make sure acc WAR harzard, at least 1 nop for src_c
    s_sub_i32 s[s_kitr], s[s_knum], 8
    s_cmp_gt_i32 s[s_kitr], 0
    s_cbranch_scc0 L_igemm_bwd_gtcx35_nhwc_fp16_bx0_ex1_bt64x64x8_wt16x16x4_ws1x1_wr2x2_ta1x1x2x1_1x8x1x32_tb1x1x2x1_1x8x1x32_mh_me_vs1_gkgs_mfma_end

    v_mov_b32 v[v_out_iwo_diff], s[s_diff_out_iwo_acc_dsx]
    v_mov_b32 v[v_out_iho_diff], s[s_diff_out_iho_acc_dsy]
    v_mov_b32 v[v_out_os_diff], s[s_diff_out_os_acc_k_dsy_dsx]
    v_mov_b32 v[v_wei_os_diff], s[s_diff_wei_os_acc_k_dsy_dsx]
    v_add_u32 v[v_wei_ike_itr], 8, v[v_wei_ike_itr]
    v_add_u32 v[v_out_ike_itr], 8, v[v_out_ike_itr]
    v_add_u32 v[v_out_dslice_ix_iy_itr], s[s_move_slice_k_dsx_dsy], v[v_out_dslice_ix_iy_itr]
    v_cmpx_le_u32 vcc, s[s_dslice_x_hi16], v[v_out_dslice_ix_iy_itr]
    v_add_u32 v[v_out_dslice_ix_iy_itr], s[s_diff_ix_iy_acc_ix], v[v_out_dslice_ix_iy_itr]
    v_add_u32 v[v_out_iwo_diff], s[s_diff_out_iwo_ovf_dsx], v[v_out_iwo_diff]
    v_subrev_u32 v[v_out_iho_diff], s[s_dtile_dy], v[v_out_iho_diff]
    v_add_u32 v[v_out_os_diff], s[s_diff_out_os_ovf_dsx_acc_dsy], v[v_out_os_diff]
    s_mov_b64 exec, -1
    v_cmpx_le_u16 vcc, s[s_dslice_y], v[v_out_dslice_ix_iy_itr]
    v_subrev_u32 v[v_out_dslice_ix_iy_itr], s[s_dslice_y], v[v_out_dslice_ix_iy_itr]
    v_add_u32 v[v_out_iho_diff], s[s_diff_out_iho_ovf_dsy], v[v_out_iho_diff]
    v_add_u32 v[v_out_os_diff], s[s_diff_out_os_ovf_dsy_acc_k], v[v_out_os_diff]
    s_mov_b64 exec, -1
    v_add_u32 v[v_wei_dslice_ix_iy_itr], s[s_move_slice_k_dsx_dsy], v[v_wei_dslice_ix_iy_itr]
    v_cmpx_le_u32 vcc, s[s_dslice_x_hi16], v[v_wei_dslice_ix_iy_itr]
    v_add_u32 v[v_wei_dslice_ix_iy_itr], s[s_diff_ix_iy_acc_ix], v[v_wei_dslice_ix_iy_itr]
    v_add_u32 v[v_wei_os_diff], s[s_diff_wei_os_ovf_dsx_acc_dsy], v[v_wei_os_diff]
    s_mov_b64 exec, -1
    v_cmpx_le_u16 vcc, s[s_dslice_y], v[v_wei_dslice_ix_iy_itr]
    v_subrev_u32 v[v_wei_dslice_ix_iy_itr], s[s_dslice_y], v[v_wei_dslice_ix_iy_itr]
    v_add_u32 v[v_wei_os_diff], s[s_diff_wei_os_ovf_dsy_acc_k], v[v_wei_os_diff]
    s_mov_b64 exec, -1
    v_add_u32 v[v_out_iwo_list], v[v_out_iwo_diff], v[v_out_iwo_list]
    v_add_u32 v[v_out_iwo_list+1], v[v_out_iwo_diff], v[v_out_iwo_list+1]
    v_add_u32 v[v_out_iho_list], v[v_out_iho_diff], v[v_out_iho_list]
    v_add_u32 v[v_out_iho_list+1], v[v_out_iho_diff], v[v_out_iho_list+1]
    v_add_u32 v[v_wei_os], v[v_wei_os_diff], v[v_wei_os]
    v_cmp_gt_u32 vcc, s[s_k_dsy_dsx], v[v_wei_ike_itr]
    v_cndmask_b32 v[v_out_iwo_diff], 0, 1, vcc
    v_and_b32 v[v_wei_flag], v[v_out_iwo_diff], v[v_wei_flag]
    v_and_b32 v[v_wei_flag+1], v[v_out_iwo_diff], v[v_wei_flag+1]
    v_cmp_gt_u32 vcc, s[s_k_dsy_dsx], v[v_out_ike_itr]
    v_cndmask_b32 v[v_out_iwo_diff], 0, 1, vcc
    v_add_u32 v[v_out_os], v[v_out_os_diff], v[v_out_os]
    v_bfe_u32 v[v_out_iho_diff], v[v_out_flag_n], 0, 1   ; extract flag_n
    v_and_b32 v[v_out_iho_diff], v[v_out_iwo_diff], v[v_out_iho_diff]
    v_cmp_gt_u32 vcc, s[s_ho], v[v_out_iho_list]
    v_cndmask_b32 v[v_out_flag], 0, v[v_out_iho_diff], vcc
    v_cmp_gt_u32 vcc, s[s_wo], v[v_out_iwo_list]
    v_cndmask_b32 v[v_out_flag], 0, v[v_out_flag], vcc
    v_add_u32 v[v_out_os+1], v[v_out_os_diff], v[v_out_os+1]
    v_bfe_u32 v[v_out_iho_diff], v[v_out_flag_n], 1, 1   ; extract flag_n
    v_and_b32 v[v_out_iho_diff], v[v_out_iwo_diff], v[v_out_iho_diff]
    v_cmp_gt_u32 vcc, s[s_ho], v[v_out_iho_list+1]
    v_cndmask_b32 v[v_out_flag+1], 0, v[v_out_iho_diff], vcc
    v_cmp_gt_u32 vcc, s[s_wo], v[v_out_iwo_list+1]
    v_cndmask_b32 v[v_out_flag+1], 0, v[v_out_flag+1], vcc
    
    s_waitcnt lgkmcnt(0)
    s_barrier
    ds_read_b64 v[v_a:v_a+1], v[v_sld_a_os] offset:0
    ds_read_b64 v[v_b:v_b+1], v[v_sld_b_os] offset:0
    ds_read_b64 v[v_b+2:v_b+2+1], v[v_sld_b_os] offset:256
    ds_read_b64 v[v_a+2:v_a+2+1], v[v_sld_a_os] offset:256
L_igemm_bwd_gtcx35_nhwc_fp16_bx0_ex1_bt64x64x8_wt16x16x4_ws1x1_wr2x2_ta1x1x2x1_1x8x1x32_tb1x1x2x1_1x8x1x32_mh_me_vs1_gkgs_mfma_body:
    ; do fma accumulate with unroll 8
    s_waitcnt lgkmcnt(2)
    v_mfma_f32_4x4x4f16 v[a_c+0:a_c+3], v[v_a+0:v_a+1], v[v_b+0:v_b+1], v[a_c+0:a_c+3]     ; repeat:0x0, step:0x0, num_a_c:4
    v_cmpx_le_u32 vcc, 1, v[v_wei_flag]
    buffer_load_short_d16 v[v_gld_b], v[v_wei_os], s[s_p_wei:s_p_wei+3], 0 offen offset:0
    s_mov_b64 exec, -1
    v_cmpx_le_u32 vcc, 1, v[v_wei_flag+1]
    buffer_load_short_d16 v[v_gld_b+1], v[v_wei_os], s[s_p_wei:s_p_wei+3], 0 offen offset:1 * k_gload_wei_c_stride
    s_mov_b64 exec, -1
    ds_read_b64 v[v_a+4:v_a+4+1], v[v_sld_a_os] offset:512 ; load i_k:1 into local buffer 1, repeat 0
    ds_read_b64 v[v_b+4:v_b+4+1], v[v_sld_b_os] offset:512 ; load i_k:1 into local buffer 1, repeat 0
    s_waitcnt lgkmcnt(3)
    v_mfma_f32_4x4x4f16 v[a_c+4:a_c+7], v[v_a+0:v_a+1], v[v_b+2:v_b+3], v[a_c+4:a_c+7]     ; repeat:0x1, step:0x0, num_a_c:4
    .v_clear_nc v_gld_a, 2
    v_cmpx_le_u32 vcc, 1, v[v_out_flag]
    buffer_load_short_d16 v[v_gld_a], v[v_out_os], s[s_p_out:s_p_out+3], s[s_out_offset] offen offset:0
    s_mov_b64 exec, -1
    ds_read_b64 v[v_b+6:v_b+6+1], v[v_sld_b_os] offset:768 ; load i_k:1 into local buffer 1, repeat 1
    ds_read_b64 v[v_a+6:v_a+6+1], v[v_sld_a_os] offset:768 ; load i_k:1 into local buffer 1, repeat 1
    s_waitcnt lgkmcnt(4)
    v_mfma_f32_4x4x4f16 v[a_c+8:a_c+11], v[v_a+2:v_a+3], v[v_b+0:v_b+1], v[a_c+8:a_c+11]     ; repeat:1x0, step:0x0, num_a_c:4
    v_cmpx_le_u32 vcc, 1, v[v_out_flag+1]
    buffer_load_short_d16 v[v_gld_a+1], v[v_out_os+1], s[s_p_out:s_p_out+3], s[s_out_offset] offen offset:0
    s_mov_b64 exec, -1
    v_mfma_f32_4x4x4f16 v[a_c+12:a_c+15], v[v_a+2:v_a+3], v[v_b+2:v_b+3], v[a_c+12:a_c+15]     ; repeat:1x1, step:0x0, num_a_c:4
    v_mov_b32 v[v_out_iwo_diff], s[s_diff_out_iwo_acc_dsx]
    v_mov_b32 v[v_out_iho_diff], s[s_diff_out_iho_acc_dsy]
    v_mov_b32 v[v_out_os_diff], s[s_diff_out_os_acc_k_dsy_dsx]
    v_mov_b32 v[v_wei_os_diff], s[s_diff_wei_os_acc_k_dsy_dsx]
    v_add_u32 v[v_wei_ike_itr], 8, v[v_wei_ike_itr]
    v_add_u32 v[v_out_ike_itr], 8, v[v_out_ike_itr]
    v_add_u32 v[v_out_dslice_ix_iy_itr], s[s_move_slice_k_dsx_dsy], v[v_out_dslice_ix_iy_itr]
    v_cmpx_le_u32 vcc, s[s_dslice_x_hi16], v[v_out_dslice_ix_iy_itr]
    v_add_u32 v[v_out_dslice_ix_iy_itr], s[s_diff_ix_iy_acc_ix], v[v_out_dslice_ix_iy_itr]
    v_add_u32 v[v_out_iwo_diff], s[s_diff_out_iwo_ovf_dsx], v[v_out_iwo_diff]
    v_subrev_u32 v[v_out_iho_diff], s[s_dtile_dy], v[v_out_iho_diff]
    v_add_u32 v[v_out_os_diff], s[s_diff_out_os_ovf_dsx_acc_dsy], v[v_out_os_diff]
    s_mov_b64 exec, -1
    v_cmpx_le_u16 vcc, s[s_dslice_y], v[v_out_dslice_ix_iy_itr]
    v_subrev_u32 v[v_out_dslice_ix_iy_itr], s[s_dslice_y], v[v_out_dslice_ix_iy_itr]
    v_add_u32 v[v_out_iho_diff], s[s_diff_out_iho_ovf_dsy], v[v_out_iho_diff]
    v_add_u32 v[v_out_os_diff], s[s_diff_out_os_ovf_dsy_acc_k], v[v_out_os_diff]
    s_mov_b64 exec, -1
    v_add_u32 v[v_wei_dslice_ix_iy_itr], s[s_move_slice_k_dsx_dsy], v[v_wei_dslice_ix_iy_itr]
    v_cmpx_le_u32 vcc, s[s_dslice_x_hi16], v[v_wei_dslice_ix_iy_itr]
    v_add_u32 v[v_wei_dslice_ix_iy_itr], s[s_diff_ix_iy_acc_ix], v[v_wei_dslice_ix_iy_itr]
    v_add_u32 v[v_wei_os_diff], s[s_diff_wei_os_ovf_dsx_acc_dsy], v[v_wei_os_diff]
    s_mov_b64 exec, -1
    v_cmpx_le_u16 vcc, s[s_dslice_y], v[v_wei_dslice_ix_iy_itr]
    v_subrev_u32 v[v_wei_dslice_ix_iy_itr], s[s_dslice_y], v[v_wei_dslice_ix_iy_itr]
    v_add_u32 v[v_wei_os_diff], s[s_diff_wei_os_ovf_dsy_acc_k], v[v_wei_os_diff]
    s_mov_b64 exec, -1
    v_add_u32 v[v_out_iwo_list], v[v_out_iwo_diff], v[v_out_iwo_list]
    s_waitcnt lgkmcnt(2)
    v_mfma_f32_4x4x4f16 v[a_c+0:a_c+3], v[v_a+4:v_a+5], v[v_b+4:v_b+5], v[a_c+0:a_c+3]     ; repeat:0x0, step:0x0, num_a_c:4
    v_add_u32 v[v_out_iwo_list+1], v[v_out_iwo_diff], v[v_out_iwo_list+1]
    v_add_u32 v[v_out_iho_list], v[v_out_iho_diff], v[v_out_iho_list]
    v_add_u32 v[v_out_iho_list+1], v[v_out_iho_diff], v[v_out_iho_list+1]
    v_add_u32 v[v_wei_os], v[v_wei_os_diff], v[v_wei_os]
    v_cmp_gt_u32 vcc, s[s_k_dsy_dsx], v[v_wei_ike_itr]
    v_cndmask_b32 v[v_out_iwo_diff], 0, 1, vcc
    v_and_b32 v[v_wei_flag], v[v_out_iwo_diff], v[v_wei_flag]
    v_and_b32 v[v_wei_flag+1], v[v_out_iwo_diff], v[v_wei_flag+1]
    v_cmp_gt_u32 vcc, s[s_k_dsy_dsx], v[v_out_ike_itr]
    v_cndmask_b32 v[v_out_iwo_diff], 0, 1, vcc
    v_add_u32 v[v_out_os], v[v_out_os_diff], v[v_out_os]
    v_bfe_u32 v[v_out_iho_diff], v[v_out_flag_n], 0, 1   ; extract flag_n
    v_and_b32 v[v_out_iho_diff], v[v_out_iwo_diff], v[v_out_iho_diff]
    s_waitcnt lgkmcnt(1)
    v_mfma_f32_4x4x4f16 v[a_c+4:a_c+7], v[v_a+4:v_a+5], v[v_b+6:v_b+7], v[a_c+4:a_c+7]     ; repeat:0x1, step:0x0, num_a_c:4
    v_cmp_gt_u32 vcc, s[s_ho], v[v_out_iho_list]
    v_cndmask_b32 v[v_out_flag], 0, v[v_out_iho_diff], vcc
    v_cmp_gt_u32 vcc, s[s_wo], v[v_out_iwo_list]
    v_cndmask_b32 v[v_out_flag], 0, v[v_out_flag], vcc
    v_add_u32 v[v_out_os+1], v[v_out_os_diff], v[v_out_os+1]
    v_bfe_u32 v[v_out_iho_diff], v[v_out_flag_n], 1, 1   ; extract flag_n
    v_and_b32 v[v_out_iho_diff], v[v_out_iwo_diff], v[v_out_iho_diff]
    v_cmp_gt_u32 vcc, s[s_ho], v[v_out_iho_list+1]
    v_cndmask_b32 v[v_out_flag+1], 0, v[v_out_iho_diff], vcc
    v_cmp_gt_u32 vcc, s[s_wo], v[v_out_iwo_list+1]
    v_cndmask_b32 v[v_out_flag+1], 0, v[v_out_flag+1], vcc
    s_waitcnt lgkmcnt(0)
    s_barrier
    s_waitcnt vmcnt(2)
    ds_write_b16 v[v_sst_b_os], v[v_gld_b]
    ds_write_b16 v[v_sst_b_os], v[v_gld_b+1] offset:256
    s_waitcnt vmcnt(0)
    ds_write_b16 v[v_sst_a_os], v[v_gld_a+0]
    ds_write_b16 v[v_sst_a_os], v[v_gld_a+1] offset:256
    s_sub_i32 s[s_kitr], s[s_kitr], 8
    s_cmp_gt_i32 s[s_kitr], 0
    s_cbranch_scc0 L_igemm_bwd_gtcx35_nhwc_fp16_bx0_ex1_bt64x64x8_wt16x16x4_ws1x1_wr2x2_ta1x1x2x1_1x8x1x32_tb1x1x2x1_1x8x1x32_mh_me_vs1_gkgs_mfma_finishing
    s_waitcnt lgkmcnt(0)
    s_barrier
    ds_read_b64 v[v_a:v_a+1], v[v_sld_a_os] offset:0
    ds_read_b64 v[v_b:v_b+1], v[v_sld_b_os] offset:0
    ds_read_b64 v[v_b+2:v_b+2+1], v[v_sld_b_os] offset:256
    ds_read_b64 v[v_a+2:v_a+2+1], v[v_sld_a_os] offset:256
    v_mfma_f32_4x4x4f16 v[a_c+8:a_c+11], v[v_a+6:v_a+7], v[v_b+4:v_b+5], v[a_c+8:a_c+11]     ; repeat:1x0, step:0x0, num_a_c:4
    v_mfma_f32_4x4x4f16 v[a_c+12:a_c+15], v[v_a+6:v_a+7], v[v_b+6:v_b+7], v[a_c+12:a_c+15]     ; repeat:1x1, step:0x0, num_a_c:4
    s_branch L_igemm_bwd_gtcx35_nhwc_fp16_bx0_ex1_bt64x64x8_wt16x16x4_ws1x1_wr2x2_ta1x1x2x1_1x8x1x32_tb1x1x2x1_1x8x1x32_mh_me_vs1_gkgs_mfma_body
L_igemm_bwd_gtcx35_nhwc_fp16_bx0_ex1_bt64x64x8_wt16x16x4_ws1x1_wr2x2_ta1x1x2x1_1x8x1x32_tb1x1x2x1_1x8x1x32_mh_me_vs1_gkgs_mfma_finishing:
    v_mfma_f32_4x4x4f16 v[a_c+8:a_c+11], v[v_a+6:v_a+7], v[v_b+4:v_b+5], v[a_c+8:a_c+11]     ; repeat:1x0, step:0x0, num_a_c:4

    v_mfma_f32_4x4x4f16 v[a_c+12:a_c+15], v[v_a+6:v_a+7], v[v_b+6:v_b+7], v[a_c+12:a_c+15]     ; repeat:1x1, step:0x0, num_a_c:4

L_igemm_bwd_gtcx35_nhwc_fp16_bx0_ex1_bt64x64x8_wt16x16x4_ws1x1_wr2x2_ta1x1x2x1_1x8x1x32_tb1x1x2x1_1x8x1x32_mh_me_vs1_gkgs_mfma_end:
    s_waitcnt lgkmcnt(0)
    s_barrier
    ds_read_b64 v[v_a:v_a+1], v[v_sld_a_os] offset:0
    ds_read_b64 v[v_b:v_b+1], v[v_sld_b_os] offset:0
    ds_read_b64 v[v_b+2:v_b+2+1], v[v_sld_b_os] offset:256
    ds_read_b64 v[v_a+2:v_a+2+1], v[v_sld_a_os] offset:256
    ; k iteration : 0
    s_waitcnt lgkmcnt(2)
    v_mfma_f32_4x4x4f16 v[a_c+0:a_c+3], v[v_a+0:v_a+1], v[v_b+0:v_b+1], v[a_c+0:a_c+3]     ; repeat:0x0, step:0x0, num_a_c:4
    ds_read_b64 v[v_a+4:v_a+4+1], v[v_sld_a_os] offset:512 ; load i_k:1 into local buffer 1, repeat 0
    ds_read_b64 v[v_b+4:v_b+4+1], v[v_sld_b_os] offset:512 ; load i_k:1 into local buffer 1, repeat 0

    s_waitcnt lgkmcnt(3)
    v_mfma_f32_4x4x4f16 v[a_c+4:a_c+7], v[v_a+0:v_a+1], v[v_b+2:v_b+3], v[a_c+4:a_c+7]     ; repeat:0x1, step:0x0, num_a_c:4
    ds_read_b64 v[v_b+6:v_b+6+1], v[v_sld_b_os] offset:768 ; load i_k:1 into local buffer 1, repeat 1
    ds_read_b64 v[v_a+6:v_a+6+1], v[v_sld_a_os] offset:768 ; load i_k:1 into local buffer 1, repeat 1

    s_waitcnt lgkmcnt(4)
    v_mfma_f32_4x4x4f16 v[a_c+8:a_c+11], v[v_a+2:v_a+3], v[v_b+0:v_b+1], v[a_c+8:a_c+11]     ; repeat:1x0, step:0x0, num_a_c:4

    v_mfma_f32_4x4x4f16 v[a_c+12:a_c+15], v[v_a+2:v_a+3], v[v_b+2:v_b+3], v[a_c+12:a_c+15]     ; repeat:1x1, step:0x0, num_a_c:4

    s_waitcnt lgkmcnt(2)
    v_mfma_f32_4x4x4f16 v[a_c+0:a_c+3], v[v_a+4:v_a+5], v[v_b+4:v_b+5], v[a_c+0:a_c+3]     ; repeat:0x0, step:0x0, num_a_c:4

    s_waitcnt lgkmcnt(1)
    v_mfma_f32_4x4x4f16 v[a_c+4:a_c+7], v[v_a+4:v_a+5], v[v_b+6:v_b+7], v[a_c+4:a_c+7]     ; repeat:0x1, step:0x0, num_a_c:4

    s_waitcnt lgkmcnt(0)
    v_mfma_f32_4x4x4f16 v[a_c+8:a_c+11], v[v_a+6:v_a+7], v[v_b+4:v_b+5], v[a_c+8:a_c+11]     ; repeat:1x0, step:0x0, num_a_c:4

    v_mfma_f32_4x4x4f16 v[a_c+12:a_c+15], v[v_a+6:v_a+7], v[v_b+6:v_b+7], v[a_c+12:a_c+15]     ; repeat:1x1, step:0x0, num_a_c:4

    s_nop 3
    v_mov_b32 v[v_in_hi_sshift], s[s_in_hi_sshift]
    s_mov_b32 s[s_tmp], 0
    v_mov_b32 v[v_in_wi_sshift], s[s_in_wi_sshift]
    ; coalescing store, mapping:mt_m:64, mt_n:64, wt_m:16, wt_n:16, ws:4, r_m:2, r_n:2, s_m:1, s_n:1 | 4x4x4, lanegroup_m_tcbw:4x1x1x1, lanegroup_n_tcbw:1x4x1x1
    ; coalescing_groups:2, num_dword_per_group:8
    ; init_co_sub_m_index xdlops, block_size:256, macro-tile:64x64 sub_m_index:[0, 4, 8, 12]
    ; g_mr:2, g_ms:1, g_mw:1, g_mb:1, g_mt:1 | l_mr:1, l_ms:1, l_mw:1, l_mb:1, l_mt:4 | n_mc:1, n_ml:4, n_mv:2
    ; nd_stride:[1, 4, 1, 1, 1, 2, 1]
    ; start group 0, i_g_mr:0, i_g_ms:0, i_g_mw:0, i_g_mb:0, i_g_mt:0, m index start from 0
    s_barrier
    ds_write_b128 v[v_co_sst], v[a_c:a_c+3]    ; idword:0(0,0),  0x0 | /4, i_mr:0, i_ms:0, i_mw:0, i_mb:0  x  i_nr:0, i_ns:0, i_nw:0
    ds_write_b128 v[v_co_sst], v[a_c+4:a_c+4+3] offset:512   ; idword:32(0,32),  0x32 | /4, i_mr:0, i_ms:0, i_mw:0, i_mb:0  x  i_nr:1, i_ns:0, i_nw:0
    v_add_u32 v[v_tmp], 0, v[v_in_inb]
    .mdiv_u32_rem_vs v_tmp+2,v_in_in,v_tmp,s_magic_3,s_shift_m3,s_dim_br,v_tmp+1
    .mdiv_u32_rem_vs v_in_iwi,v_in_ihi,v_tmp+2,s_magic_2,s_shift_m2,s_dslice_w,v_tmp+1
    v_mad_u32_u24 v[v_in_ihi], v[v_in_ihi], s[s_stride_h], v[v_in_hi_sshift]
    v_mad_u32_u24 v[v_in_iwi], v[v_in_iwi], s[s_stride_w], v[v_in_wi_sshift]
    v_mad_u32_u24 v[v_tmp+1], v[v_in_ihi], s[s_wi], v[v_in_iwi]
    v_mul_lo_u32 v[v_tmp+1], s[s_in_stride_wi], v[v_tmp+1]
    v_add_u32 v[v_in_os], v[v_tmp+1], v[v_co_sub_n_index]
    v_mul_lo_u32 v[v_tmp+1], s[s_in_stride_n], v[v_in_in]
    v_add_u32 v[v_in_os], v[v_tmp+1], v[v_in_os]
    v_cmp_gt_u32 vcc, s[s_n], v[v_in_in]
    v_cndmask_b32 v[v_tmp+1], 0, v[v_in_flag_c], vcc
    v_cmp_gt_u32 vcc, s[s_hi], v[v_in_ihi]
    v_cndmask_b32 v[v_in_flag], 0, v[v_tmp+1], vcc
    v_cmp_gt_u32 vcc, s[s_wi], v[v_in_iwi]
    v_cndmask_b32 v[v_in_flag], 0, v[v_in_flag], vcc
    s_waitcnt lgkmcnt(0)
    s_barrier
    ;   load from lds, i_ssgroup:0, num_sld_per_ssgroup:2
    ds_read_b128 v[v_c:v_c+3], v[v_co_sld] offset:0
    ds_read_b128 v[v_c+4:v_c+4+3], v[v_co_sld] offset:4096
    ;   store to global, m index start from 0, m0:0, m1:0
    s_waitcnt lgkmcnt(1)
    v_cmpx_le_u32 vcc, 1, v[v_in_flag]
    buffer_atomic_add_f32_m v[v_c], v[v_in_os], s[s_p_in:s_p_in+3], s[s_tmp] offen offset:0
    s_mov_b64 exec, -1
    v_add_u32 v[v_tmp], 1, v[v_in_inb]
    .mdiv_u32_rem_vs v_tmp+2,v_in_in,v_tmp,s_magic_3,s_shift_m3,s_dim_br,v_tmp+1
    .mdiv_u32_rem_vs v_in_iwi,v_in_ihi,v_tmp+2,s_magic_2,s_shift_m2,s_dslice_w,v_tmp+1
    v_mad_u32_u24 v[v_in_ihi], v[v_in_ihi], s[s_stride_h], v[v_in_hi_sshift]
    v_mad_u32_u24 v[v_in_iwi], v[v_in_iwi], s[s_stride_w], v[v_in_wi_sshift]
    v_mad_u32_u24 v[v_tmp+1], v[v_in_ihi], s[s_wi], v[v_in_iwi]
    v_mul_lo_u32 v[v_tmp+1], s[s_in_stride_wi], v[v_tmp+1]
    v_add_u32 v[v_in_os], v[v_tmp+1], v[v_co_sub_n_index]
    v_mul_lo_u32 v[v_tmp+1], s[s_in_stride_n], v[v_in_in]
    v_add_u32 v[v_in_os], v[v_tmp+1], v[v_in_os]
    v_cmp_gt_u32 vcc, s[s_n], v[v_in_in]
    v_cndmask_b32 v[v_tmp+1], 0, v[v_in_flag_c], vcc
    v_cmp_gt_u32 vcc, s[s_hi], v[v_in_ihi]
    v_cndmask_b32 v[v_in_flag], 0, v[v_tmp+1], vcc
    v_cmp_gt_u32 vcc, s[s_wi], v[v_in_iwi]
    v_cndmask_b32 v[v_in_flag], 0, v[v_in_flag], vcc
    v_cmpx_le_u32 vcc, 1, v[v_in_flag]
    buffer_atomic_add_f32_m v[v_c+1], v[v_in_os], s[s_p_in:s_p_in+3], s[s_tmp] offen offset:0
    s_mov_b64 exec, -1
    v_add_u32 v[v_tmp], 2, v[v_in_inb]
    .mdiv_u32_rem_vs v_tmp+2,v_in_in,v_tmp,s_magic_3,s_shift_m3,s_dim_br,v_tmp+1
    .mdiv_u32_rem_vs v_in_iwi,v_in_ihi,v_tmp+2,s_magic_2,s_shift_m2,s_dslice_w,v_tmp+1
    v_mad_u32_u24 v[v_in_ihi], v[v_in_ihi], s[s_stride_h], v[v_in_hi_sshift]
    v_mad_u32_u24 v[v_in_iwi], v[v_in_iwi], s[s_stride_w], v[v_in_wi_sshift]
    v_mad_u32_u24 v[v_tmp+1], v[v_in_ihi], s[s_wi], v[v_in_iwi]
    v_mul_lo_u32 v[v_tmp+1], s[s_in_stride_wi], v[v_tmp+1]
    v_add_u32 v[v_in_os], v[v_tmp+1], v[v_co_sub_n_index]
    v_mul_lo_u32 v[v_tmp+1], s[s_in_stride_n], v[v_in_in]
    v_add_u32 v[v_in_os], v[v_tmp+1], v[v_in_os]
    v_cmp_gt_u32 vcc, s[s_n], v[v_in_in]
    v_cndmask_b32 v[v_tmp+1], 0, v[v_in_flag_c], vcc
    v_cmp_gt_u32 vcc, s[s_hi], v[v_in_ihi]
    v_cndmask_b32 v[v_in_flag], 0, v[v_tmp+1], vcc
    v_cmp_gt_u32 vcc, s[s_wi], v[v_in_iwi]
    v_cndmask_b32 v[v_in_flag], 0, v[v_in_flag], vcc
    v_cmpx_le_u32 vcc, 1, v[v_in_flag]
    buffer_atomic_add_f32_m v[v_c+2], v[v_in_os], s[s_p_in:s_p_in+3], s[s_tmp] offen offset:0
    s_mov_b64 exec, -1
    v_add_u32 v[v_tmp], 3, v[v_in_inb]
    .mdiv_u32_rem_vs v_tmp+2,v_in_in,v_tmp,s_magic_3,s_shift_m3,s_dim_br,v_tmp+1
    .mdiv_u32_rem_vs v_in_iwi,v_in_ihi,v_tmp+2,s_magic_2,s_shift_m2,s_dslice_w,v_tmp+1
    v_mad_u32_u24 v[v_in_ihi], v[v_in_ihi], s[s_stride_h], v[v_in_hi_sshift]
    v_mad_u32_u24 v[v_in_iwi], v[v_in_iwi], s[s_stride_w], v[v_in_wi_sshift]
    v_mad_u32_u24 v[v_tmp+1], v[v_in_ihi], s[s_wi], v[v_in_iwi]
    v_mul_lo_u32 v[v_tmp+1], s[s_in_stride_wi], v[v_tmp+1]
    v_add_u32 v[v_in_os], v[v_tmp+1], v[v_co_sub_n_index]
    v_mul_lo_u32 v[v_tmp+1], s[s_in_stride_n], v[v_in_in]
    v_add_u32 v[v_in_os], v[v_tmp+1], v[v_in_os]
    v_cmp_gt_u32 vcc, s[s_n], v[v_in_in]
    v_cndmask_b32 v[v_tmp+1], 0, v[v_in_flag_c], vcc
    v_cmp_gt_u32 vcc, s[s_hi], v[v_in_ihi]
    v_cndmask_b32 v[v_in_flag], 0, v[v_tmp+1], vcc
    v_cmp_gt_u32 vcc, s[s_wi], v[v_in_iwi]
    v_cndmask_b32 v[v_in_flag], 0, v[v_in_flag], vcc
    v_cmpx_le_u32 vcc, 1, v[v_in_flag]
    buffer_atomic_add_f32_m v[v_c+3], v[v_in_os], s[s_p_in:s_p_in+3], s[s_tmp] offen offset:0
    s_mov_b64 exec, -1
    v_add_u32 v[v_tmp], 16, v[v_in_inb]
    .mdiv_u32_rem_vs v_tmp+2,v_in_in,v_tmp,s_magic_3,s_shift_m3,s_dim_br,v_tmp+1
    .mdiv_u32_rem_vs v_in_iwi,v_in_ihi,v_tmp+2,s_magic_2,s_shift_m2,s_dslice_w,v_tmp+1
    v_mad_u32_u24 v[v_in_ihi], v[v_in_ihi], s[s_stride_h], v[v_in_hi_sshift]
    v_mad_u32_u24 v[v_in_iwi], v[v_in_iwi], s[s_stride_w], v[v_in_wi_sshift]
    v_mad_u32_u24 v[v_tmp+1], v[v_in_ihi], s[s_wi], v[v_in_iwi]
    v_mul_lo_u32 v[v_tmp+1], s[s_in_stride_wi], v[v_tmp+1]
    v_add_u32 v[v_in_os], v[v_tmp+1], v[v_co_sub_n_index]
    v_mul_lo_u32 v[v_tmp+1], s[s_in_stride_n], v[v_in_in]
    v_add_u32 v[v_in_os], v[v_tmp+1], v[v_in_os]
    v_cmp_gt_u32 vcc, s[s_n], v[v_in_in]
    v_cndmask_b32 v[v_tmp+1], 0, v[v_in_flag_c], vcc
    v_cmp_gt_u32 vcc, s[s_hi], v[v_in_ihi]
    v_cndmask_b32 v[v_in_flag], 0, v[v_tmp+1], vcc
    v_cmp_gt_u32 vcc, s[s_wi], v[v_in_iwi]
    v_cndmask_b32 v[v_in_flag], 0, v[v_in_flag], vcc
    s_waitcnt lgkmcnt(0)
    v_cmpx_le_u32 vcc, 1, v[v_in_flag]
    buffer_atomic_add_f32_m v[v_c+4], v[v_in_os], s[s_p_in:s_p_in+3], s[s_tmp] offen offset:0
    s_mov_b64 exec, -1
    v_add_u32 v[v_tmp], 17, v[v_in_inb]
    .mdiv_u32_rem_vs v_tmp+2,v_in_in,v_tmp,s_magic_3,s_shift_m3,s_dim_br,v_tmp+1
    .mdiv_u32_rem_vs v_in_iwi,v_in_ihi,v_tmp+2,s_magic_2,s_shift_m2,s_dslice_w,v_tmp+1
    v_mad_u32_u24 v[v_in_ihi], v[v_in_ihi], s[s_stride_h], v[v_in_hi_sshift]
    v_mad_u32_u24 v[v_in_iwi], v[v_in_iwi], s[s_stride_w], v[v_in_wi_sshift]
    v_mad_u32_u24 v[v_tmp+1], v[v_in_ihi], s[s_wi], v[v_in_iwi]
    v_mul_lo_u32 v[v_tmp+1], s[s_in_stride_wi], v[v_tmp+1]
    v_add_u32 v[v_in_os], v[v_tmp+1], v[v_co_sub_n_index]
    v_mul_lo_u32 v[v_tmp+1], s[s_in_stride_n], v[v_in_in]
    v_add_u32 v[v_in_os], v[v_tmp+1], v[v_in_os]
    v_cmp_gt_u32 vcc, s[s_n], v[v_in_in]
    v_cndmask_b32 v[v_tmp+1], 0, v[v_in_flag_c], vcc
    v_cmp_gt_u32 vcc, s[s_hi], v[v_in_ihi]
    v_cndmask_b32 v[v_in_flag], 0, v[v_tmp+1], vcc
    v_cmp_gt_u32 vcc, s[s_wi], v[v_in_iwi]
    v_cndmask_b32 v[v_in_flag], 0, v[v_in_flag], vcc
    v_cmpx_le_u32 vcc, 1, v[v_in_flag]
    buffer_atomic_add_f32_m v[v_c+5], v[v_in_os], s[s_p_in:s_p_in+3], s[s_tmp] offen offset:0
    s_mov_b64 exec, -1
    v_add_u32 v[v_tmp], 18, v[v_in_inb]
    .mdiv_u32_rem_vs v_tmp+2,v_in_in,v_tmp,s_magic_3,s_shift_m3,s_dim_br,v_tmp+1
    .mdiv_u32_rem_vs v_in_iwi,v_in_ihi,v_tmp+2,s_magic_2,s_shift_m2,s_dslice_w,v_tmp+1
    v_mad_u32_u24 v[v_in_ihi], v[v_in_ihi], s[s_stride_h], v[v_in_hi_sshift]
    v_mad_u32_u24 v[v_in_iwi], v[v_in_iwi], s[s_stride_w], v[v_in_wi_sshift]
    v_mad_u32_u24 v[v_tmp+1], v[v_in_ihi], s[s_wi], v[v_in_iwi]
    v_mul_lo_u32 v[v_tmp+1], s[s_in_stride_wi], v[v_tmp+1]
    v_add_u32 v[v_in_os], v[v_tmp+1], v[v_co_sub_n_index]
    v_mul_lo_u32 v[v_tmp+1], s[s_in_stride_n], v[v_in_in]
    v_add_u32 v[v_in_os], v[v_tmp+1], v[v_in_os]
    v_cmp_gt_u32 vcc, s[s_n], v[v_in_in]
    v_cndmask_b32 v[v_tmp+1], 0, v[v_in_flag_c], vcc
    v_cmp_gt_u32 vcc, s[s_hi], v[v_in_ihi]
    v_cndmask_b32 v[v_in_flag], 0, v[v_tmp+1], vcc
    v_cmp_gt_u32 vcc, s[s_wi], v[v_in_iwi]
    v_cndmask_b32 v[v_in_flag], 0, v[v_in_flag], vcc
    v_cmpx_le_u32 vcc, 1, v[v_in_flag]
    buffer_atomic_add_f32_m v[v_c+6], v[v_in_os], s[s_p_in:s_p_in+3], s[s_tmp] offen offset:0
    s_mov_b64 exec, -1
    v_add_u32 v[v_tmp], 19, v[v_in_inb]
    .mdiv_u32_rem_vs v_tmp+2,v_in_in,v_tmp,s_magic_3,s_shift_m3,s_dim_br,v_tmp+1
    .mdiv_u32_rem_vs v_in_iwi,v_in_ihi,v_tmp+2,s_magic_2,s_shift_m2,s_dslice_w,v_tmp+1
    v_mad_u32_u24 v[v_in_ihi], v[v_in_ihi], s[s_stride_h], v[v_in_hi_sshift]
    v_mad_u32_u24 v[v_in_iwi], v[v_in_iwi], s[s_stride_w], v[v_in_wi_sshift]
    v_mad_u32_u24 v[v_tmp+1], v[v_in_ihi], s[s_wi], v[v_in_iwi]
    v_mul_lo_u32 v[v_tmp+1], s[s_in_stride_wi], v[v_tmp+1]
    v_add_u32 v[v_in_os], v[v_tmp+1], v[v_co_sub_n_index]
    v_mul_lo_u32 v[v_tmp+1], s[s_in_stride_n], v[v_in_in]
    v_add_u32 v[v_in_os], v[v_tmp+1], v[v_in_os]
    v_cmp_gt_u32 vcc, s[s_n], v[v_in_in]
    v_cndmask_b32 v[v_tmp+1], 0, v[v_in_flag_c], vcc
    v_cmp_gt_u32 vcc, s[s_hi], v[v_in_ihi]
    v_cndmask_b32 v[v_in_flag], 0, v[v_tmp+1], vcc
    v_cmp_gt_u32 vcc, s[s_wi], v[v_in_iwi]
    v_cndmask_b32 v[v_in_flag], 0, v[v_in_flag], vcc
    v_cmpx_le_u32 vcc, 1, v[v_in_flag]
    buffer_atomic_add_f32_m v[v_c+7], v[v_in_os], s[s_p_in:s_p_in+3], s[s_tmp] offen offset:0
    s_mov_b64 exec, -1
    ; start group 1, i_g_mr:1, i_g_ms:0, i_g_mw:0, i_g_mb:0, i_g_mt:0, m index start from 32
    s_barrier
    ds_write_b128 v[v_co_sst], v[a_c+8:a_c+8+3]    ; idword:0(0,0),  0x0 | /4, i_mr:0, i_ms:0, i_mw:0, i_mb:0  x  i_nr:0, i_ns:0, i_nw:0
    ds_write_b128 v[v_co_sst], v[a_c+12:a_c+12+3] offset:512   ; idword:32(0,32),  0x32 | /4, i_mr:0, i_ms:0, i_mw:0, i_mb:0  x  i_nr:1, i_ns:0, i_nw:0
    v_add_u32 v[v_tmp], 32, v[v_in_inb]
    .mdiv_u32_rem_vs v_tmp+2,v_in_in,v_tmp,s_magic_3,s_shift_m3,s_dim_br,v_tmp+1
    .mdiv_u32_rem_vs v_in_iwi,v_in_ihi,v_tmp+2,s_magic_2,s_shift_m2,s_dslice_w,v_tmp+1
    v_mad_u32_u24 v[v_in_ihi], v[v_in_ihi], s[s_stride_h], v[v_in_hi_sshift]
    v_mad_u32_u24 v[v_in_iwi], v[v_in_iwi], s[s_stride_w], v[v_in_wi_sshift]
    v_mad_u32_u24 v[v_tmp+1], v[v_in_ihi], s[s_wi], v[v_in_iwi]
    v_mul_lo_u32 v[v_tmp+1], s[s_in_stride_wi], v[v_tmp+1]
    v_add_u32 v[v_in_os], v[v_tmp+1], v[v_co_sub_n_index]
    v_mul_lo_u32 v[v_tmp+1], s[s_in_stride_n], v[v_in_in]
    v_add_u32 v[v_in_os], v[v_tmp+1], v[v_in_os]
    v_cmp_gt_u32 vcc, s[s_n], v[v_in_in]
    v_cndmask_b32 v[v_tmp+1], 0, v[v_in_flag_c], vcc
    v_cmp_gt_u32 vcc, s[s_hi], v[v_in_ihi]
    v_cndmask_b32 v[v_in_flag], 0, v[v_tmp+1], vcc
    v_cmp_gt_u32 vcc, s[s_wi], v[v_in_iwi]
    v_cndmask_b32 v[v_in_flag], 0, v[v_in_flag], vcc
    s_waitcnt lgkmcnt(0)
    s_barrier
    ;   load from lds, i_ssgroup:0, num_sld_per_ssgroup:2
    ds_read_b128 v[v_c:v_c+3], v[v_co_sld] offset:0
    ds_read_b128 v[v_c+4:v_c+4+3], v[v_co_sld] offset:4096
    ;   store to global, m index start from 32, m0:1, m1:0
    s_waitcnt lgkmcnt(1)
    v_cmpx_le_u32 vcc, 1, v[v_in_flag]
    buffer_atomic_add_f32_m v[v_c], v[v_in_os], s[s_p_in:s_p_in+3], s[s_tmp] offen offset:0
    s_mov_b64 exec, -1
    v_add_u32 v[v_tmp], 33, v[v_in_inb]
    .mdiv_u32_rem_vs v_tmp+2,v_in_in,v_tmp,s_magic_3,s_shift_m3,s_dim_br,v_tmp+1
    .mdiv_u32_rem_vs v_in_iwi,v_in_ihi,v_tmp+2,s_magic_2,s_shift_m2,s_dslice_w,v_tmp+1
    v_mad_u32_u24 v[v_in_ihi], v[v_in_ihi], s[s_stride_h], v[v_in_hi_sshift]
    v_mad_u32_u24 v[v_in_iwi], v[v_in_iwi], s[s_stride_w], v[v_in_wi_sshift]
    v_mad_u32_u24 v[v_tmp+1], v[v_in_ihi], s[s_wi], v[v_in_iwi]
    v_mul_lo_u32 v[v_tmp+1], s[s_in_stride_wi], v[v_tmp+1]
    v_add_u32 v[v_in_os], v[v_tmp+1], v[v_co_sub_n_index]
    v_mul_lo_u32 v[v_tmp+1], s[s_in_stride_n], v[v_in_in]
    v_add_u32 v[v_in_os], v[v_tmp+1], v[v_in_os]
    v_cmp_gt_u32 vcc, s[s_n], v[v_in_in]
    v_cndmask_b32 v[v_tmp+1], 0, v[v_in_flag_c], vcc
    v_cmp_gt_u32 vcc, s[s_hi], v[v_in_ihi]
    v_cndmask_b32 v[v_in_flag], 0, v[v_tmp+1], vcc
    v_cmp_gt_u32 vcc, s[s_wi], v[v_in_iwi]
    v_cndmask_b32 v[v_in_flag], 0, v[v_in_flag], vcc
    v_cmpx_le_u32 vcc, 1, v[v_in_flag]
    buffer_atomic_add_f32_m v[v_c+1], v[v_in_os], s[s_p_in:s_p_in+3], s[s_tmp] offen offset:0
    s_mov_b64 exec, -1
    v_add_u32 v[v_tmp], 34, v[v_in_inb]
    .mdiv_u32_rem_vs v_tmp+2,v_in_in,v_tmp,s_magic_3,s_shift_m3,s_dim_br,v_tmp+1
    .mdiv_u32_rem_vs v_in_iwi,v_in_ihi,v_tmp+2,s_magic_2,s_shift_m2,s_dslice_w,v_tmp+1
    v_mad_u32_u24 v[v_in_ihi], v[v_in_ihi], s[s_stride_h], v[v_in_hi_sshift]
    v_mad_u32_u24 v[v_in_iwi], v[v_in_iwi], s[s_stride_w], v[v_in_wi_sshift]
    v_mad_u32_u24 v[v_tmp+1], v[v_in_ihi], s[s_wi], v[v_in_iwi]
    v_mul_lo_u32 v[v_tmp+1], s[s_in_stride_wi], v[v_tmp+1]
    v_add_u32 v[v_in_os], v[v_tmp+1], v[v_co_sub_n_index]
    v_mul_lo_u32 v[v_tmp+1], s[s_in_stride_n], v[v_in_in]
    v_add_u32 v[v_in_os], v[v_tmp+1], v[v_in_os]
    v_cmp_gt_u32 vcc, s[s_n], v[v_in_in]
    v_cndmask_b32 v[v_tmp+1], 0, v[v_in_flag_c], vcc
    v_cmp_gt_u32 vcc, s[s_hi], v[v_in_ihi]
    v_cndmask_b32 v[v_in_flag], 0, v[v_tmp+1], vcc
    v_cmp_gt_u32 vcc, s[s_wi], v[v_in_iwi]
    v_cndmask_b32 v[v_in_flag], 0, v[v_in_flag], vcc
    v_cmpx_le_u32 vcc, 1, v[v_in_flag]
    buffer_atomic_add_f32_m v[v_c+2], v[v_in_os], s[s_p_in:s_p_in+3], s[s_tmp] offen offset:0
    s_mov_b64 exec, -1
    v_add_u32 v[v_tmp], 35, v[v_in_inb]
    .mdiv_u32_rem_vs v_tmp+2,v_in_in,v_tmp,s_magic_3,s_shift_m3,s_dim_br,v_tmp+1
    .mdiv_u32_rem_vs v_in_iwi,v_in_ihi,v_tmp+2,s_magic_2,s_shift_m2,s_dslice_w,v_tmp+1
    v_mad_u32_u24 v[v_in_ihi], v[v_in_ihi], s[s_stride_h], v[v_in_hi_sshift]
    v_mad_u32_u24 v[v_in_iwi], v[v_in_iwi], s[s_stride_w], v[v_in_wi_sshift]
    v_mad_u32_u24 v[v_tmp+1], v[v_in_ihi], s[s_wi], v[v_in_iwi]
    v_mul_lo_u32 v[v_tmp+1], s[s_in_stride_wi], v[v_tmp+1]
    v_add_u32 v[v_in_os], v[v_tmp+1], v[v_co_sub_n_index]
    v_mul_lo_u32 v[v_tmp+1], s[s_in_stride_n], v[v_in_in]
    v_add_u32 v[v_in_os], v[v_tmp+1], v[v_in_os]
    v_cmp_gt_u32 vcc, s[s_n], v[v_in_in]
    v_cndmask_b32 v[v_tmp+1], 0, v[v_in_flag_c], vcc
    v_cmp_gt_u32 vcc, s[s_hi], v[v_in_ihi]
    v_cndmask_b32 v[v_in_flag], 0, v[v_tmp+1], vcc
    v_cmp_gt_u32 vcc, s[s_wi], v[v_in_iwi]
    v_cndmask_b32 v[v_in_flag], 0, v[v_in_flag], vcc
    v_cmpx_le_u32 vcc, 1, v[v_in_flag]
    buffer_atomic_add_f32_m v[v_c+3], v[v_in_os], s[s_p_in:s_p_in+3], s[s_tmp] offen offset:0
    s_mov_b64 exec, -1
    v_add_u32 v[v_tmp], 48, v[v_in_inb]
    .mdiv_u32_rem_vs v_tmp+2,v_in_in,v_tmp,s_magic_3,s_shift_m3,s_dim_br,v_tmp+1
    .mdiv_u32_rem_vs v_in_iwi,v_in_ihi,v_tmp+2,s_magic_2,s_shift_m2,s_dslice_w,v_tmp+1
    v_mad_u32_u24 v[v_in_ihi], v[v_in_ihi], s[s_stride_h], v[v_in_hi_sshift]
    v_mad_u32_u24 v[v_in_iwi], v[v_in_iwi], s[s_stride_w], v[v_in_wi_sshift]
    v_mad_u32_u24 v[v_tmp+1], v[v_in_ihi], s[s_wi], v[v_in_iwi]
    v_mul_lo_u32 v[v_tmp+1], s[s_in_stride_wi], v[v_tmp+1]
    v_add_u32 v[v_in_os], v[v_tmp+1], v[v_co_sub_n_index]
    v_mul_lo_u32 v[v_tmp+1], s[s_in_stride_n], v[v_in_in]
    v_add_u32 v[v_in_os], v[v_tmp+1], v[v_in_os]
    v_cmp_gt_u32 vcc, s[s_n], v[v_in_in]
    v_cndmask_b32 v[v_tmp+1], 0, v[v_in_flag_c], vcc
    v_cmp_gt_u32 vcc, s[s_hi], v[v_in_ihi]
    v_cndmask_b32 v[v_in_flag], 0, v[v_tmp+1], vcc
    v_cmp_gt_u32 vcc, s[s_wi], v[v_in_iwi]
    v_cndmask_b32 v[v_in_flag], 0, v[v_in_flag], vcc
    s_waitcnt lgkmcnt(0)
    v_cmpx_le_u32 vcc, 1, v[v_in_flag]
    buffer_atomic_add_f32_m v[v_c+4], v[v_in_os], s[s_p_in:s_p_in+3], s[s_tmp] offen offset:0
    s_mov_b64 exec, -1
    v_add_u32 v[v_tmp], 49, v[v_in_inb]
    .mdiv_u32_rem_vs v_tmp+2,v_in_in,v_tmp,s_magic_3,s_shift_m3,s_dim_br,v_tmp+1
    .mdiv_u32_rem_vs v_in_iwi,v_in_ihi,v_tmp+2,s_magic_2,s_shift_m2,s_dslice_w,v_tmp+1
    v_mad_u32_u24 v[v_in_ihi], v[v_in_ihi], s[s_stride_h], v[v_in_hi_sshift]
    v_mad_u32_u24 v[v_in_iwi], v[v_in_iwi], s[s_stride_w], v[v_in_wi_sshift]
    v_mad_u32_u24 v[v_tmp+1], v[v_in_ihi], s[s_wi], v[v_in_iwi]
    v_mul_lo_u32 v[v_tmp+1], s[s_in_stride_wi], v[v_tmp+1]
    v_add_u32 v[v_in_os], v[v_tmp+1], v[v_co_sub_n_index]
    v_mul_lo_u32 v[v_tmp+1], s[s_in_stride_n], v[v_in_in]
    v_add_u32 v[v_in_os], v[v_tmp+1], v[v_in_os]
    v_cmp_gt_u32 vcc, s[s_n], v[v_in_in]
    v_cndmask_b32 v[v_tmp+1], 0, v[v_in_flag_c], vcc
    v_cmp_gt_u32 vcc, s[s_hi], v[v_in_ihi]
    v_cndmask_b32 v[v_in_flag], 0, v[v_tmp+1], vcc
    v_cmp_gt_u32 vcc, s[s_wi], v[v_in_iwi]
    v_cndmask_b32 v[v_in_flag], 0, v[v_in_flag], vcc
    v_cmpx_le_u32 vcc, 1, v[v_in_flag]
    buffer_atomic_add_f32_m v[v_c+5], v[v_in_os], s[s_p_in:s_p_in+3], s[s_tmp] offen offset:0
    s_mov_b64 exec, -1
    v_add_u32 v[v_tmp], 50, v[v_in_inb]
    .mdiv_u32_rem_vs v_tmp+2,v_in_in,v_tmp,s_magic_3,s_shift_m3,s_dim_br,v_tmp+1
    .mdiv_u32_rem_vs v_in_iwi,v_in_ihi,v_tmp+2,s_magic_2,s_shift_m2,s_dslice_w,v_tmp+1
    v_mad_u32_u24 v[v_in_ihi], v[v_in_ihi], s[s_stride_h], v[v_in_hi_sshift]
    v_mad_u32_u24 v[v_in_iwi], v[v_in_iwi], s[s_stride_w], v[v_in_wi_sshift]
    v_mad_u32_u24 v[v_tmp+1], v[v_in_ihi], s[s_wi], v[v_in_iwi]
    v_mul_lo_u32 v[v_tmp+1], s[s_in_stride_wi], v[v_tmp+1]
    v_add_u32 v[v_in_os], v[v_tmp+1], v[v_co_sub_n_index]
    v_mul_lo_u32 v[v_tmp+1], s[s_in_stride_n], v[v_in_in]
    v_add_u32 v[v_in_os], v[v_tmp+1], v[v_in_os]
    v_cmp_gt_u32 vcc, s[s_n], v[v_in_in]
    v_cndmask_b32 v[v_tmp+1], 0, v[v_in_flag_c], vcc
    v_cmp_gt_u32 vcc, s[s_hi], v[v_in_ihi]
    v_cndmask_b32 v[v_in_flag], 0, v[v_tmp+1], vcc
    v_cmp_gt_u32 vcc, s[s_wi], v[v_in_iwi]
    v_cndmask_b32 v[v_in_flag], 0, v[v_in_flag], vcc
    v_cmpx_le_u32 vcc, 1, v[v_in_flag]
    buffer_atomic_add_f32_m v[v_c+6], v[v_in_os], s[s_p_in:s_p_in+3], s[s_tmp] offen offset:0
    s_mov_b64 exec, -1
    v_add_u32 v[v_tmp], 51, v[v_in_inb]
    .mdiv_u32_rem_vs v_tmp+2,v_in_in,v_tmp,s_magic_3,s_shift_m3,s_dim_br,v_tmp+1
    .mdiv_u32_rem_vs v_in_iwi,v_in_ihi,v_tmp+2,s_magic_2,s_shift_m2,s_dslice_w,v_tmp+1
    v_mad_u32_u24 v[v_in_ihi], v[v_in_ihi], s[s_stride_h], v[v_in_hi_sshift]
    v_mad_u32_u24 v[v_in_iwi], v[v_in_iwi], s[s_stride_w], v[v_in_wi_sshift]
    v_mad_u32_u24 v[v_tmp+1], v[v_in_ihi], s[s_wi], v[v_in_iwi]
    v_mul_lo_u32 v[v_tmp+1], s[s_in_stride_wi], v[v_tmp+1]
    v_add_u32 v[v_in_os], v[v_tmp+1], v[v_co_sub_n_index]
    v_mul_lo_u32 v[v_tmp+1], s[s_in_stride_n], v[v_in_in]
    v_add_u32 v[v_in_os], v[v_tmp+1], v[v_in_os]
    v_cmp_gt_u32 vcc, s[s_n], v[v_in_in]
    v_cndmask_b32 v[v_tmp+1], 0, v[v_in_flag_c], vcc
    v_cmp_gt_u32 vcc, s[s_hi], v[v_in_ihi]
    v_cndmask_b32 v[v_in_flag], 0, v[v_tmp+1], vcc
    v_cmp_gt_u32 vcc, s[s_wi], v[v_in_iwi]
    v_cndmask_b32 v[v_in_flag], 0, v[v_in_flag], vcc
    v_cmpx_le_u32 vcc, 1, v[v_in_flag]
    buffer_atomic_add_f32_m v[v_c+7], v[v_in_os], s[s_p_in:s_p_in+3], s[s_tmp] offen offset:0
    s_mov_b64 exec, -1
L_igemm_bwd_gtcx35_nhwc_fp16_bx0_ex1_bt64x64x8_wt16x16x4_ws1x1_wr2x2_ta1x1x2x1_1x8x1x32_tb1x1x2x1_1x8x1x32_mh_me_vs1_gkgs_out:
    s_endpgm
.rodata
.p2align 6
.amdhsa_kernel igemm_bwd_gtcx35_nhwc_fp16_bx0_ex1_bt64x64x8_wt16x16x4_ws1x1_wr2x2_ta1x1x2x1_1x8x1x32_tb1x1x2x1_1x8x1x32_mh_me_vs1_gkgs
    .amdhsa_group_segment_fixed_size 8192
    .amdhsa_user_sgpr_kernarg_segment_ptr 1
    .amdhsa_system_sgpr_workgroup_id_x 1
    .amdhsa_system_sgpr_workgroup_id_y 1
    .amdhsa_system_vgpr_workitem_id 0
    .amdhsa_next_free_vgpr 72
    .amdhsa_next_free_sgpr 84
    .amdhsa_ieee_mode 1
    .amdhsa_dx10_clamp 1
    .amdhsa_float_round_mode_32 3
    .amdhsa_float_round_mode_16_64 3
    .amdhsa_tg_split 0
    .amdhsa_accum_offset 56
.end_amdhsa_kernel

.amdgpu_metadata
---
amdhsa.version: [ 1, 0 ]
amdhsa.kernels:
  - .name: igemm_bwd_gtcx35_nhwc_fp16_bx0_ex1_bt64x64x8_wt16x16x4_ws1x1_wr2x2_ta1x1x2x1_1x8x1x32_tb1x1x2x1_1x8x1x32_mh_me_vs1_gkgs
    .symbol: igemm_bwd_gtcx35_nhwc_fp16_bx0_ex1_bt64x64x8_wt16x16x4_ws1x1_wr2x2_ta1x1x2x1_1x8x1x32_tb1x1x2x1_1x8x1x32_mh_me_vs1_gkgs.kd
    .sgpr_count: 90
    .vgpr_count: 72
    .kernarg_segment_align: 8
    .kernarg_segment_size: 168
    .group_segment_fixed_size: 8192
    .private_segment_fixed_size: 0
    .wavefront_size: 64
    .reqd_workgroup_size : [256, 1, 1]
    .max_flat_workgroup_size: 256
    .args:
    - { .name: p_in_     , .size: 8, .offset:   0, .value_kind: global_buffer, .value_type: f32, .address_space: global, .is_const: false}
    - { .name: p_wei_    , .size: 8, .offset:   8, .value_kind: global_buffer, .value_type: f32, .address_space: global, .is_const: true}
    - { .name: p_out_    , .size: 8, .offset:  16, .value_kind: global_buffer, .value_type: f32, .address_space: global, .is_const: true}
    - { .name: hi_       , .size: 4, .offset:  24, .value_kind: by_value, .value_type: i32}
    - { .name: wi_       , .size: 4, .offset:  28, .value_kind: by_value, .value_type: i32}
    - { .name: n_        , .size: 4, .offset:  32, .value_kind: by_value, .value_type: i32}
    - { .name: k_        , .size: 4, .offset:  36, .value_kind: by_value, .value_type: i32}
    - { .name: c_        , .size: 4, .offset:  40, .value_kind: by_value, .value_type: i32}
    - { .name: ho_       , .size: 4, .offset:  44, .value_kind: by_value, .value_type: i32}
    - { .name: wo_       , .size: 4, .offset:  48, .value_kind: by_value, .value_type: i32}
    - { .name: stride_h_ , .size: 4, .offset:  52, .value_kind: by_value, .value_type: i32}
    - { .name: stride_w_ , .size: 4, .offset:  56, .value_kind: by_value, .value_type: i32}
    - { .name: dilation_h_, .size: 4, .offset:  60, .value_kind: by_value, .value_type: i32}
    - { .name: dilation_w_, .size: 4, .offset:  64, .value_kind: by_value, .value_type: i32}
    - { .name: pad_h_    , .size: 4, .offset:  68, .value_kind: by_value, .value_type: i32}
    - { .name: pad_w_    , .size: 4, .offset:  72, .value_kind: by_value, .value_type: i32}
    - { .name: y_        , .size: 4, .offset:  76, .value_kind: by_value, .value_type: i32}
    - { .name: x_        , .size: 4, .offset:  80, .value_kind: by_value, .value_type: i32}
    - { .name: dtile_iy_ , .size: 4, .offset:  84, .value_kind: by_value, .value_type: i32}
    - { .name: dtile_ix_ , .size: 4, .offset:  88, .value_kind: by_value, .value_type: i32}
    - { .name: dtile_dy_ , .size: 4, .offset:  92, .value_kind: by_value, .value_type: i32}
    - { .name: dtile_dx_ , .size: 4, .offset:  96, .value_kind: by_value, .value_type: i32}
    - { .name: dtile_y_  , .size: 4, .offset: 100, .value_kind: by_value, .value_type: i32}
    - { .name: dtile_x_  , .size: 4, .offset: 104, .value_kind: by_value, .value_type: i32}
    - { .name: dtile_h_  , .size: 4, .offset: 108, .value_kind: by_value, .value_type: i32}
    - { .name: dtile_w_  , .size: 4, .offset: 112, .value_kind: by_value, .value_type: i32}
    - { .name: dslice_y_ , .size: 4, .offset: 116, .value_kind: by_value, .value_type: i32}
    - { .name: dslice_x_ , .size: 4, .offset: 120, .value_kind: by_value, .value_type: i32}
    - { .name: dslice_h_ , .size: 4, .offset: 124, .value_kind: by_value, .value_type: i32}
    - { .name: dslice_w_ , .size: 4, .offset: 128, .value_kind: by_value, .value_type: i32}
    - { .name: dslice_h_left_, .size: 4, .offset: 132, .value_kind: by_value, .value_type: i32}
    - { .name: dslice_w_left_, .size: 4, .offset: 136, .value_kind: by_value, .value_type: i32}
    - { .name: group_    , .size: 4, .offset: 140, .value_kind: by_value, .value_type: i32}
    - { .name: magic_0_  , .size: 4, .offset: 144, .value_kind: by_value, .value_type: i32}
    - { .name: magic_1_  , .size: 4, .offset: 148, .value_kind: by_value, .value_type: i32}
    - { .name: magic_2_  , .size: 4, .offset: 152, .value_kind: by_value, .value_type: i32}
    - { .name: magic_3_  , .size: 4, .offset: 156, .value_kind: by_value, .value_type: i32}
    - { .name: shift_pack_0_, .size: 4, .offset: 160, .value_kind: by_value, .value_type: i32}
    - { .name: ks_       , .size: 4, .offset: 164, .value_kind: by_value, .value_type: i32}
...
.end_amdgpu_metadata
